;; amdgpu-corpus repo=llvm/llvm-project kind=harvested arch=n/a opt=n/a
// NOTE: Assertions have been autogenerated by utils/update_mc_test_checks.py UTC_ARGS: --unique --version 5
// RUN: not llvm-mc -triple=amdgcn -mcpu=gfx1200 -mattr=+wavefrontsize32,-real-true16 -show-encoding %s | FileCheck --check-prefixes=GFX12,W32 %s
// RUN: not llvm-mc -triple=amdgcn -mcpu=gfx1200 -mattr=+wavefrontsize64,-real-true16 -show-encoding %s | FileCheck --check-prefixes=GFX12,W64 %s
// RUN: not llvm-mc -triple=amdgcn -mcpu=gfx1200 -mattr=+wavefrontsize32,-real-true16 -filetype=null %s 2>&1 | FileCheck --check-prefix=W32-ERR --implicit-check-not=error: %s
// RUN: not llvm-mc -triple=amdgcn -mcpu=gfx1200 -mattr=+wavefrontsize64,-real-true16 -filetype=null %s 2>&1 | FileCheck --check-prefix=W64-ERR --implicit-check-not=error: %s

v_add_co_ci_u32_e64_dpp v5, s6, v1, v2, s3 quad_perm:[3,2,1,0]
// W32: v_add_co_ci_u32_e64_dpp v5, s6, v1, v2, s3 quad_perm:[3,2,1,0] row_mask:0xf bank_mask:0xf ; encoding: [0x05,0x06,0x20,0xd5,0xfa,0x04,0x0e,0x00,0x01,0x1b,0x00,0xff]
// W64-ERR: :[[@LINE-2]]:29: error: invalid operand for instruction

v_add_co_ci_u32_e64_dpp v5, s6, v1, v2, s3 quad_perm:[0,1,2,3]
// W32: v_add_co_ci_u32_e64_dpp v5, s6, v1, v2, s3 quad_perm:[0,1,2,3] row_mask:0xf bank_mask:0xf ; encoding: [0x05,0x06,0x20,0xd5,0xfa,0x04,0x0e,0x00,0x01,0xe4,0x00,0xff]
// W64-ERR: :[[@LINE-2]]:29: error: invalid operand for instruction

v_add_co_ci_u32_e64_dpp v5, s6, v1, v2, s3 row_mirror
// W32: v_add_co_ci_u32_e64_dpp v5, s6, v1, v2, s3 row_mirror row_mask:0xf bank_mask:0xf ; encoding: [0x05,0x06,0x20,0xd5,0xfa,0x04,0x0e,0x00,0x01,0x40,0x01,0xff]
// W64-ERR: :[[@LINE-2]]:29: error: invalid operand for instruction

v_add_co_ci_u32_e64_dpp v5, s6, v1, v2, s3 row_half_mirror
// W32: v_add_co_ci_u32_e64_dpp v5, s6, v1, v2, s3 row_half_mirror row_mask:0xf bank_mask:0xf ; encoding: [0x05,0x06,0x20,0xd5,0xfa,0x04,0x0e,0x00,0x01,0x41,0x01,0xff]
// W64-ERR: :[[@LINE-2]]:29: error: invalid operand for instruction

v_add_co_ci_u32_e64_dpp v5, s6, v1, v2, s3 row_shl:1
// W32: v_add_co_ci_u32_e64_dpp v5, s6, v1, v2, s3 row_shl:1 row_mask:0xf bank_mask:0xf ; encoding: [0x05,0x06,0x20,0xd5,0xfa,0x04,0x0e,0x00,0x01,0x01,0x01,0xff]
// W64-ERR: :[[@LINE-2]]:29: error: invalid operand for instruction

v_add_co_ci_u32_e64_dpp v5, s6, v1, v2, s3 row_shl:15
// W32: v_add_co_ci_u32_e64_dpp v5, s6, v1, v2, s3 row_shl:15 row_mask:0xf bank_mask:0xf ; encoding: [0x05,0x06,0x20,0xd5,0xfa,0x04,0x0e,0x00,0x01,0x0f,0x01,0xff]
// W64-ERR: :[[@LINE-2]]:29: error: invalid operand for instruction

v_add_co_ci_u32_e64_dpp v5, s6, v1, v2, s3 row_shr:1
// W32: v_add_co_ci_u32_e64_dpp v5, s6, v1, v2, s3 row_shr:1 row_mask:0xf bank_mask:0xf ; encoding: [0x05,0x06,0x20,0xd5,0xfa,0x04,0x0e,0x00,0x01,0x11,0x01,0xff]
// W64-ERR: :[[@LINE-2]]:29: error: invalid operand for instruction

v_add_co_ci_u32_e64_dpp v5, s6, v1, v2, s3 row_shr:15
// W32: v_add_co_ci_u32_e64_dpp v5, s6, v1, v2, s3 row_shr:15 row_mask:0xf bank_mask:0xf ; encoding: [0x05,0x06,0x20,0xd5,0xfa,0x04,0x0e,0x00,0x01,0x1f,0x01,0xff]
// W64-ERR: :[[@LINE-2]]:29: error: invalid operand for instruction

v_add_co_ci_u32_e64_dpp v5, s6, v1, v2, s3 row_ror:1
// W32: v_add_co_ci_u32_e64_dpp v5, s6, v1, v2, s3 row_ror:1 row_mask:0xf bank_mask:0xf ; encoding: [0x05,0x06,0x20,0xd5,0xfa,0x04,0x0e,0x00,0x01,0x21,0x01,0xff]
// W64-ERR: :[[@LINE-2]]:29: error: invalid operand for instruction

v_add_co_ci_u32_e64_dpp v5, s105, v1, v2, s105 row_ror:15
// W32: v_add_co_ci_u32_e64_dpp v5, s105, v1, v2, s105 row_ror:15 row_mask:0xf bank_mask:0xf ; encoding: [0x05,0x69,0x20,0xd5,0xfa,0x04,0xa6,0x01,0x01,0x2f,0x01,0xff]
// W64-ERR: :[[@LINE-2]]:29: error: invalid operand for instruction

v_add_co_ci_u32_e64_dpp v5, vcc_lo, v1, v2, vcc_hi row_share:0 row_mask:0xf bank_mask:0xf
// W32: v_add_co_ci_u32_e64_dpp v5, vcc_lo, v1, v2, vcc_hi row_share:0 row_mask:0xf bank_mask:0xf ; encoding: [0x05,0x6a,0x20,0xd5,0xfa,0x04,0xae,0x01,0x01,0x50,0x01,0xff]
// W64-ERR: :[[@LINE-2]]:29: error: invalid operand for instruction

v_add_co_ci_u32_e64_dpp v5, vcc_hi, v1, v2, vcc_lo row_share:15 row_mask:0x0 bank_mask:0x1
// W32: v_add_co_ci_u32_e64_dpp v5, vcc_hi, v1, v2, vcc_lo row_share:15 row_mask:0x0 bank_mask:0x1 ; encoding: [0x05,0x6b,0x20,0xd5,0xfa,0x04,0xaa,0x01,0x01,0x5f,0x01,0x01]
// W64-ERR: :[[@LINE-2]]:29: error: invalid operand for instruction

v_add_co_ci_u32_e64_dpp v5, ttmp15, v1, v2, ttmp15 row_xmask:0 row_mask:0x1 bank_mask:0x3 bound_ctrl:1 fi:0
// W32: v_add_co_ci_u32_e64_dpp v5, ttmp15, v1, v2, ttmp15 row_xmask:0 row_mask:0x1 bank_mask:0x3 bound_ctrl:1 ; encoding: [0x05,0x7b,0x20,0xd5,0xfa,0x04,0xee,0x01,0x01,0x60,0x09,0x13]
// W64-ERR: :[[@LINE-2]]:29: error: invalid operand for instruction

v_add_co_ci_u32_e64_dpp v5, s[12:13], v1, v2, s[6:7] quad_perm:[3,2,1,0]
// W32-ERR: :[[@LINE-1]]:29: error: invalid operand for instruction
// W64: v_add_co_ci_u32_e64_dpp v5, s[12:13], v1, v2, s[6:7] quad_perm:[3,2,1,0] row_mask:0xf bank_mask:0xf ; encoding: [0x05,0x0c,0x20,0xd5,0xfa,0x04,0x1a,0x00,0x01,0x1b,0x00,0xff]

v_add_co_ci_u32_e64_dpp v5, s[12:13], v1, v2, s[6:7] quad_perm:[0,1,2,3]
// W32-ERR: :[[@LINE-1]]:29: error: invalid operand for instruction
// W64: v_add_co_ci_u32_e64_dpp v5, s[12:13], v1, v2, s[6:7] quad_perm:[0,1,2,3] row_mask:0xf bank_mask:0xf ; encoding: [0x05,0x0c,0x20,0xd5,0xfa,0x04,0x1a,0x00,0x01,0xe4,0x00,0xff]

v_add_co_ci_u32_e64_dpp v5, s[12:13], v1, v2, s[6:7] row_mirror
// W32-ERR: :[[@LINE-1]]:29: error: invalid operand for instruction
// W64: v_add_co_ci_u32_e64_dpp v5, s[12:13], v1, v2, s[6:7] row_mirror row_mask:0xf bank_mask:0xf ; encoding: [0x05,0x0c,0x20,0xd5,0xfa,0x04,0x1a,0x00,0x01,0x40,0x01,0xff]

v_add_co_ci_u32_e64_dpp v5, s[12:13], v1, v2, s[6:7] row_half_mirror
// W32-ERR: :[[@LINE-1]]:29: error: invalid operand for instruction
// W64: v_add_co_ci_u32_e64_dpp v5, s[12:13], v1, v2, s[6:7] row_half_mirror row_mask:0xf bank_mask:0xf ; encoding: [0x05,0x0c,0x20,0xd5,0xfa,0x04,0x1a,0x00,0x01,0x41,0x01,0xff]

v_add_co_ci_u32_e64_dpp v5, s[12:13], v1, v2, s[6:7] row_shl:1
// W32-ERR: :[[@LINE-1]]:29: error: invalid operand for instruction
// W64: v_add_co_ci_u32_e64_dpp v5, s[12:13], v1, v2, s[6:7] row_shl:1 row_mask:0xf bank_mask:0xf ; encoding: [0x05,0x0c,0x20,0xd5,0xfa,0x04,0x1a,0x00,0x01,0x01,0x01,0xff]

v_add_co_ci_u32_e64_dpp v5, s[12:13], v1, v2, s[6:7] row_shl:15
// W32-ERR: :[[@LINE-1]]:29: error: invalid operand for instruction
// W64: v_add_co_ci_u32_e64_dpp v5, s[12:13], v1, v2, s[6:7] row_shl:15 row_mask:0xf bank_mask:0xf ; encoding: [0x05,0x0c,0x20,0xd5,0xfa,0x04,0x1a,0x00,0x01,0x0f,0x01,0xff]

v_add_co_ci_u32_e64_dpp v5, s[12:13], v1, v2, s[6:7] row_shr:1
// W32-ERR: :[[@LINE-1]]:29: error: invalid operand for instruction
// W64: v_add_co_ci_u32_e64_dpp v5, s[12:13], v1, v2, s[6:7] row_shr:1 row_mask:0xf bank_mask:0xf ; encoding: [0x05,0x0c,0x20,0xd5,0xfa,0x04,0x1a,0x00,0x01,0x11,0x01,0xff]

v_add_co_ci_u32_e64_dpp v5, s[12:13], v1, v2, s[6:7] row_shr:15
// W32-ERR: :[[@LINE-1]]:29: error: invalid operand for instruction
// W64: v_add_co_ci_u32_e64_dpp v5, s[12:13], v1, v2, s[6:7] row_shr:15 row_mask:0xf bank_mask:0xf ; encoding: [0x05,0x0c,0x20,0xd5,0xfa,0x04,0x1a,0x00,0x01,0x1f,0x01,0xff]

v_add_co_ci_u32_e64_dpp v5, s[12:13], v1, v2, s[6:7] row_ror:1
// W32-ERR: :[[@LINE-1]]:29: error: invalid operand for instruction
// W64: v_add_co_ci_u32_e64_dpp v5, s[12:13], v1, v2, s[6:7] row_ror:1 row_mask:0xf bank_mask:0xf ; encoding: [0x05,0x0c,0x20,0xd5,0xfa,0x04,0x1a,0x00,0x01,0x21,0x01,0xff]

v_add_co_ci_u32_e64_dpp v5, s[12:13], v1, v2, s[6:7] row_ror:15
// W32-ERR: :[[@LINE-1]]:29: error: invalid operand for instruction
// W64: v_add_co_ci_u32_e64_dpp v5, s[12:13], v1, v2, s[6:7] row_ror:15 row_mask:0xf bank_mask:0xf ; encoding: [0x05,0x0c,0x20,0xd5,0xfa,0x04,0x1a,0x00,0x01,0x2f,0x01,0xff]

v_add_co_ci_u32_e64_dpp v5, s[104:105], v1, v2, s[104:105] row_share:0 row_mask:0xf bank_mask:0xf
// W32-ERR: :[[@LINE-1]]:29: error: invalid operand for instruction
// W64: v_add_co_ci_u32_e64_dpp v5, s[104:105], v1, v2, s[104:105] row_share:0 row_mask:0xf bank_mask:0xf ; encoding: [0x05,0x68,0x20,0xd5,0xfa,0x04,0xa2,0x01,0x01,0x50,0x01,0xff]

v_add_co_ci_u32_e64_dpp v5, vcc, v1, v2, vcc row_share:15 row_mask:0x0 bank_mask:0x1
// W32-ERR: :[[@LINE-1]]:29: error: invalid operand for instruction
// W64: v_add_co_ci_u32_e64_dpp v5, vcc, v1, v2, vcc row_share:15 row_mask:0x0 bank_mask:0x1 ; encoding: [0x05,0x6a,0x20,0xd5,0xfa,0x04,0xaa,0x01,0x01,0x5f,0x01,0x01]

v_add_co_ci_u32_e64_dpp v5, ttmp[14:15], v1, v2, ttmp[14:15] row_xmask:0 row_mask:0x1 bank_mask:0x3 bound_ctrl:1 fi:0
// W32-ERR: :[[@LINE-1]]:29: error: invalid operand for instruction
// W64: v_add_co_ci_u32_e64_dpp v5, ttmp[14:15], v1, v2, ttmp[14:15] row_xmask:0 row_mask:0x1 bank_mask:0x3 bound_ctrl:1 ; encoding: [0x05,0x7a,0x20,0xd5,0xfa,0x04,0xea,0x01,0x01,0x60,0x09,0x13]

v_add_co_ci_u32_e64_dpp v255, null, v255, v255, null clamp row_xmask:15 row_mask:0x3 bank_mask:0x0 bound_ctrl:0 fi:1
// GFX12: v_add_co_ci_u32_e64_dpp v255, null, v255, v255, null clamp row_xmask:15 row_mask:0x3 bank_mask:0x0 fi:1 ; encoding: [0xff,0xfc,0x20,0xd5,0xfa,0xfe,0xf3,0x01,0xff,0x6f,0x05,0x30]

v_add_f16_e64_dpp v5, v1, v2 quad_perm:[3,2,1,0]
// GFX12: v_add_f16_e64_dpp v5, v1, v2 quad_perm:[3,2,1,0] row_mask:0xf bank_mask:0xf ; encoding: [0x05,0x00,0x32,0xd5,0xfa,0x04,0x02,0x00,0x01,0x1b,0x00,0xff]

v_add_f16_e64_dpp v5, v1, v2 quad_perm:[0,1,2,3]
// GFX12: v_add_f16_e64_dpp v5, v1, v2 quad_perm:[0,1,2,3] row_mask:0xf bank_mask:0xf ; encoding: [0x05,0x00,0x32,0xd5,0xfa,0x04,0x02,0x00,0x01,0xe4,0x00,0xff]

v_add_f16_e64_dpp v5, v1, v2 row_mirror
// GFX12: v_add_f16_e64_dpp v5, v1, v2 row_mirror row_mask:0xf bank_mask:0xf ; encoding: [0x05,0x00,0x32,0xd5,0xfa,0x04,0x02,0x00,0x01,0x40,0x01,0xff]

v_add_f16_e64_dpp v5, v1, v2 row_half_mirror
// GFX12: v_add_f16_e64_dpp v5, v1, v2 row_half_mirror row_mask:0xf bank_mask:0xf ; encoding: [0x05,0x00,0x32,0xd5,0xfa,0x04,0x02,0x00,0x01,0x41,0x01,0xff]

v_add_f16_e64_dpp v5, v1, v2 row_shl:1
// GFX12: v_add_f16_e64_dpp v5, v1, v2 row_shl:1 row_mask:0xf bank_mask:0xf ; encoding: [0x05,0x00,0x32,0xd5,0xfa,0x04,0x02,0x00,0x01,0x01,0x01,0xff]

v_add_f16_e64_dpp v5, v1, v2 row_shl:15
// GFX12: v_add_f16_e64_dpp v5, v1, v2 row_shl:15 row_mask:0xf bank_mask:0xf ; encoding: [0x05,0x00,0x32,0xd5,0xfa,0x04,0x02,0x00,0x01,0x0f,0x01,0xff]
	;; [unrolled: 3-line block ×3, first 2 shown]

v_add_f16_e64_dpp v5, v1, 2.0 row_shl:15
// GFX12: v_add_f16_e64_dpp v5, v1, 2.0 row_shl:15 row_mask:0xf bank_mask:0xf ; encoding: [0x05,0x00,0x32,0xd5,0xfa,0xe8,0x01,0x00,0x01,0x0f,0x01,0xff]

v_add_f16_e64_dpp v5, v1, v2 row_shr:1
// GFX12: v_add_f16_e64_dpp v5, v1, v2 row_shr:1 row_mask:0xf bank_mask:0xf ; encoding: [0x05,0x00,0x32,0xd5,0xfa,0x04,0x02,0x00,0x01,0x11,0x01,0xff]

v_add_f16_e64_dpp v5, v1, v2 row_shr:15
// GFX12: v_add_f16_e64_dpp v5, v1, v2 row_shr:15 row_mask:0xf bank_mask:0xf ; encoding: [0x05,0x00,0x32,0xd5,0xfa,0x04,0x02,0x00,0x01,0x1f,0x01,0xff]

v_add_f16_e64_dpp v5, v1, v2 row_ror:1
// GFX12: v_add_f16_e64_dpp v5, v1, v2 row_ror:1 row_mask:0xf bank_mask:0xf ; encoding: [0x05,0x00,0x32,0xd5,0xfa,0x04,0x02,0x00,0x01,0x21,0x01,0xff]

v_add_f16_e64_dpp v5, v1, v2 row_ror:15
// GFX12: v_add_f16_e64_dpp v5, v1, v2 row_ror:15 row_mask:0xf bank_mask:0xf ; encoding: [0x05,0x00,0x32,0xd5,0xfa,0x04,0x02,0x00,0x01,0x2f,0x01,0xff]

v_add_f16_e64_dpp v5, v1, v2 row_share:0 row_mask:0xf bank_mask:0xf
// GFX12: v_add_f16_e64_dpp v5, v1, v2 row_share:0 row_mask:0xf bank_mask:0xf ; encoding: [0x05,0x00,0x32,0xd5,0xfa,0x04,0x02,0x00,0x01,0x50,0x01,0xff]

v_add_f16_e64_dpp v5, |v1|, -v2 mul:2 row_share:15 row_mask:0x0 bank_mask:0x1
// GFX12: v_add_f16_e64_dpp v5, |v1|, -v2 mul:2 row_share:15 row_mask:0x0 bank_mask:0x1 ; encoding: [0x05,0x01,0x32,0xd5,0xfa,0x04,0x02,0x48,0x01,0x5f,0x01,0x01]

v_add_f16_e64_dpp v5, -v1, |v2| mul:4 row_xmask:0 row_mask:0x1 bank_mask:0x3 bound_ctrl:1 fi:0
// GFX12: v_add_f16_e64_dpp v5, -v1, |v2| mul:4 row_xmask:0 row_mask:0x1 bank_mask:0x3 bound_ctrl:1 ; encoding: [0x05,0x02,0x32,0xd5,0xfa,0x04,0x02,0x30,0x01,0x60,0x09,0x13]

v_add_f16_e64_dpp v255, -|v255|, -|v255| clamp div:2 row_xmask:15 row_mask:0x3 bank_mask:0x0 bound_ctrl:0 fi:1
// GFX12: v_add_f16_e64_dpp v255, -|v255|, -|v255| clamp div:2 row_xmask:15 row_mask:0x3 bank_mask:0x0 fi:1 ; encoding: [0xff,0x83,0x32,0xd5,0xfa,0xfe,0x03,0x78,0xff,0x6f,0x05,0x30]

v_add_f32_e64_dpp v5, v1, v2 quad_perm:[3,2,1,0]
// GFX12: v_add_f32_e64_dpp v5, v1, v2 quad_perm:[3,2,1,0] row_mask:0xf bank_mask:0xf ; encoding: [0x05,0x00,0x03,0xd5,0xfa,0x04,0x02,0x00,0x01,0x1b,0x00,0xff]

v_add_f32_e64_dpp v5, v1, v2 quad_perm:[0,1,2,3]
// GFX12: v_add_f32_e64_dpp v5, v1, v2 quad_perm:[0,1,2,3] row_mask:0xf bank_mask:0xf ; encoding: [0x05,0x00,0x03,0xd5,0xfa,0x04,0x02,0x00,0x01,0xe4,0x00,0xff]

v_add_f32_e64_dpp v5, v1, v2 row_mirror
// GFX12: v_add_f32_e64_dpp v5, v1, v2 row_mirror row_mask:0xf bank_mask:0xf ; encoding: [0x05,0x00,0x03,0xd5,0xfa,0x04,0x02,0x00,0x01,0x40,0x01,0xff]

v_add_f32_e64_dpp v5, v1, v2 row_half_mirror
// GFX12: v_add_f32_e64_dpp v5, v1, v2 row_half_mirror row_mask:0xf bank_mask:0xf ; encoding: [0x05,0x00,0x03,0xd5,0xfa,0x04,0x02,0x00,0x01,0x41,0x01,0xff]

v_add_f32_e64_dpp v5, v1, v2 row_shl:1
// GFX12: v_add_f32_e64_dpp v5, v1, v2 row_shl:1 row_mask:0xf bank_mask:0xf ; encoding: [0x05,0x00,0x03,0xd5,0xfa,0x04,0x02,0x00,0x01,0x01,0x01,0xff]

v_add_f32_e64_dpp v5, v1, v2 row_shl:15
// GFX12: v_add_f32_e64_dpp v5, v1, v2 row_shl:15 row_mask:0xf bank_mask:0xf ; encoding: [0x05,0x00,0x03,0xd5,0xfa,0x04,0x02,0x00,0x01,0x0f,0x01,0xff]
	;; [unrolled: 3-line block ×3, first 2 shown]

v_add_f32_e64_dpp v5, v1, 2.0 row_shl:15
// GFX12: v_add_f32_e64_dpp v5, v1, 2.0 row_shl:15 row_mask:0xf bank_mask:0xf ; encoding: [0x05,0x00,0x03,0xd5,0xfa,0xe8,0x01,0x00,0x01,0x0f,0x01,0xff]

v_add_f32_e64_dpp v5, v1, v2 row_shr:1
// GFX12: v_add_f32_e64_dpp v5, v1, v2 row_shr:1 row_mask:0xf bank_mask:0xf ; encoding: [0x05,0x00,0x03,0xd5,0xfa,0x04,0x02,0x00,0x01,0x11,0x01,0xff]

v_add_f32_e64_dpp v5, v1, v2 row_shr:15
// GFX12: v_add_f32_e64_dpp v5, v1, v2 row_shr:15 row_mask:0xf bank_mask:0xf ; encoding: [0x05,0x00,0x03,0xd5,0xfa,0x04,0x02,0x00,0x01,0x1f,0x01,0xff]

v_add_f32_e64_dpp v5, v1, v2 row_ror:1
// GFX12: v_add_f32_e64_dpp v5, v1, v2 row_ror:1 row_mask:0xf bank_mask:0xf ; encoding: [0x05,0x00,0x03,0xd5,0xfa,0x04,0x02,0x00,0x01,0x21,0x01,0xff]

v_add_f32_e64_dpp v5, v1, v2 row_ror:15
// GFX12: v_add_f32_e64_dpp v5, v1, v2 row_ror:15 row_mask:0xf bank_mask:0xf ; encoding: [0x05,0x00,0x03,0xd5,0xfa,0x04,0x02,0x00,0x01,0x2f,0x01,0xff]

v_add_f32_e64_dpp v5, v1, v2 row_share:0 row_mask:0xf bank_mask:0xf
// GFX12: v_add_f32_e64_dpp v5, v1, v2 row_share:0 row_mask:0xf bank_mask:0xf ; encoding: [0x05,0x00,0x03,0xd5,0xfa,0x04,0x02,0x00,0x01,0x50,0x01,0xff]

v_add_f32_e64_dpp v5, |v1|, -v2 mul:2 row_share:15 row_mask:0x0 bank_mask:0x1
// GFX12: v_add_f32_e64_dpp v5, |v1|, -v2 mul:2 row_share:15 row_mask:0x0 bank_mask:0x1 ; encoding: [0x05,0x01,0x03,0xd5,0xfa,0x04,0x02,0x48,0x01,0x5f,0x01,0x01]

v_add_f32_e64_dpp v5, -v1, |v2| mul:4 row_xmask:0 row_mask:0x1 bank_mask:0x3 bound_ctrl:1 fi:0
// GFX12: v_add_f32_e64_dpp v5, -v1, |v2| mul:4 row_xmask:0 row_mask:0x1 bank_mask:0x3 bound_ctrl:1 ; encoding: [0x05,0x02,0x03,0xd5,0xfa,0x04,0x02,0x30,0x01,0x60,0x09,0x13]

v_add_f32_e64_dpp v255, -|v255|, -|v255| clamp div:2 row_xmask:15 row_mask:0x3 bank_mask:0x0 bound_ctrl:0 fi:1
// GFX12: v_add_f32_e64_dpp v255, -|v255|, -|v255| clamp div:2 row_xmask:15 row_mask:0x3 bank_mask:0x0 fi:1 ; encoding: [0xff,0x83,0x03,0xd5,0xfa,0xfe,0x03,0x78,0xff,0x6f,0x05,0x30]

v_add_nc_u32_e64_dpp v5, v1, v2 quad_perm:[3,2,1,0]
// GFX12: v_add_nc_u32_e64_dpp v5, v1, v2 quad_perm:[3,2,1,0] row_mask:0xf bank_mask:0xf ; encoding: [0x05,0x00,0x25,0xd5,0xfa,0x04,0x02,0x00,0x01,0x1b,0x00,0xff]

v_add_nc_u32_e64_dpp v5, v1, v2 quad_perm:[0,1,2,3]
// GFX12: v_add_nc_u32_e64_dpp v5, v1, v2 quad_perm:[0,1,2,3] row_mask:0xf bank_mask:0xf ; encoding: [0x05,0x00,0x25,0xd5,0xfa,0x04,0x02,0x00,0x01,0xe4,0x00,0xff]

v_add_nc_u32_e64_dpp v5, v1, v2 row_mirror
// GFX12: v_add_nc_u32_e64_dpp v5, v1, v2 row_mirror row_mask:0xf bank_mask:0xf ; encoding: [0x05,0x00,0x25,0xd5,0xfa,0x04,0x02,0x00,0x01,0x40,0x01,0xff]

v_add_nc_u32_e64_dpp v5, v1, v2 row_half_mirror
// GFX12: v_add_nc_u32_e64_dpp v5, v1, v2 row_half_mirror row_mask:0xf bank_mask:0xf ; encoding: [0x05,0x00,0x25,0xd5,0xfa,0x04,0x02,0x00,0x01,0x41,0x01,0xff]

v_add_nc_u32_e64_dpp v5, v1, v2 row_shl:1
// GFX12: v_add_nc_u32_e64_dpp v5, v1, v2 row_shl:1 row_mask:0xf bank_mask:0xf ; encoding: [0x05,0x00,0x25,0xd5,0xfa,0x04,0x02,0x00,0x01,0x01,0x01,0xff]

v_add_nc_u32_e64_dpp v5, v1, v2 row_shl:15
// GFX12: v_add_nc_u32_e64_dpp v5, v1, v2 row_shl:15 row_mask:0xf bank_mask:0xf ; encoding: [0x05,0x00,0x25,0xd5,0xfa,0x04,0x02,0x00,0x01,0x0f,0x01,0xff]
	;; [unrolled: 3-line block ×4, first 2 shown]

v_add_nc_u32_e64_dpp v5, v1, v2 row_shr:1
// GFX12: v_add_nc_u32_e64_dpp v5, v1, v2 row_shr:1 row_mask:0xf bank_mask:0xf ; encoding: [0x05,0x00,0x25,0xd5,0xfa,0x04,0x02,0x00,0x01,0x11,0x01,0xff]

v_add_nc_u32_e64_dpp v5, v1, v2 row_shr:15
// GFX12: v_add_nc_u32_e64_dpp v5, v1, v2 row_shr:15 row_mask:0xf bank_mask:0xf ; encoding: [0x05,0x00,0x25,0xd5,0xfa,0x04,0x02,0x00,0x01,0x1f,0x01,0xff]

v_add_nc_u32_e64_dpp v5, v1, v2 row_ror:1
// GFX12: v_add_nc_u32_e64_dpp v5, v1, v2 row_ror:1 row_mask:0xf bank_mask:0xf ; encoding: [0x05,0x00,0x25,0xd5,0xfa,0x04,0x02,0x00,0x01,0x21,0x01,0xff]

v_add_nc_u32_e64_dpp v5, v1, v2 row_ror:15
// GFX12: v_add_nc_u32_e64_dpp v5, v1, v2 row_ror:15 row_mask:0xf bank_mask:0xf ; encoding: [0x05,0x00,0x25,0xd5,0xfa,0x04,0x02,0x00,0x01,0x2f,0x01,0xff]

v_add_nc_u32_e64_dpp v5, v1, v2 row_share:0 row_mask:0xf bank_mask:0xf
// GFX12: v_add_nc_u32_e64_dpp v5, v1, v2 row_share:0 row_mask:0xf bank_mask:0xf ; encoding: [0x05,0x00,0x25,0xd5,0xfa,0x04,0x02,0x00,0x01,0x50,0x01,0xff]

v_add_nc_u32_e64_dpp v5, v1, v2 row_share:15 row_mask:0x0 bank_mask:0x1
// GFX12: v_add_nc_u32_e64_dpp v5, v1, v2 row_share:15 row_mask:0x0 bank_mask:0x1 ; encoding: [0x05,0x00,0x25,0xd5,0xfa,0x04,0x02,0x00,0x01,0x5f,0x01,0x01]

v_add_nc_u32_e64_dpp v5, v1, v2 row_xmask:0 row_mask:0x1 bank_mask:0x3 bound_ctrl:1 fi:0
// GFX12: v_add_nc_u32_e64_dpp v5, v1, v2 row_xmask:0 row_mask:0x1 bank_mask:0x3 bound_ctrl:1 ; encoding: [0x05,0x00,0x25,0xd5,0xfa,0x04,0x02,0x00,0x01,0x60,0x09,0x13]

v_add_nc_u32_e64_dpp v255, v255, v255 clamp row_xmask:15 row_mask:0x3 bank_mask:0x0 bound_ctrl:0 fi:1
// GFX12: v_add_nc_u32_e64_dpp v255, v255, v255 clamp row_xmask:15 row_mask:0x3 bank_mask:0x0 fi:1 ; encoding: [0xff,0x80,0x25,0xd5,0xfa,0xfe,0x03,0x00,0xff,0x6f,0x05,0x30]

v_and_b32_e64_dpp v5, v1, v2 quad_perm:[3,2,1,0]
// GFX12: v_and_b32_e64_dpp v5, v1, v2 quad_perm:[3,2,1,0] row_mask:0xf bank_mask:0xf ; encoding: [0x05,0x00,0x1b,0xd5,0xfa,0x04,0x02,0x00,0x01,0x1b,0x00,0xff]

v_and_b32_e64_dpp v5, v1, v2 quad_perm:[0,1,2,3]
// GFX12: v_and_b32_e64_dpp v5, v1, v2 quad_perm:[0,1,2,3] row_mask:0xf bank_mask:0xf ; encoding: [0x05,0x00,0x1b,0xd5,0xfa,0x04,0x02,0x00,0x01,0xe4,0x00,0xff]

v_and_b32_e64_dpp v5, v1, v2 row_mirror
// GFX12: v_and_b32_e64_dpp v5, v1, v2 row_mirror row_mask:0xf bank_mask:0xf ; encoding: [0x05,0x00,0x1b,0xd5,0xfa,0x04,0x02,0x00,0x01,0x40,0x01,0xff]

v_and_b32_e64_dpp v5, v1, v2 row_half_mirror
// GFX12: v_and_b32_e64_dpp v5, v1, v2 row_half_mirror row_mask:0xf bank_mask:0xf ; encoding: [0x05,0x00,0x1b,0xd5,0xfa,0x04,0x02,0x00,0x01,0x41,0x01,0xff]

v_and_b32_e64_dpp v5, v1, v2 row_shl:1
// GFX12: v_and_b32_e64_dpp v5, v1, v2 row_shl:1 row_mask:0xf bank_mask:0xf ; encoding: [0x05,0x00,0x1b,0xd5,0xfa,0x04,0x02,0x00,0x01,0x01,0x01,0xff]

v_and_b32_e64_dpp v5, v1, v2 row_shl:15
// GFX12: v_and_b32_e64_dpp v5, v1, v2 row_shl:15 row_mask:0xf bank_mask:0xf ; encoding: [0x05,0x00,0x1b,0xd5,0xfa,0x04,0x02,0x00,0x01,0x0f,0x01,0xff]
	;; [unrolled: 3-line block ×4, first 2 shown]

v_and_b32_e64_dpp v5, v1, v2 row_shr:1
// GFX12: v_and_b32_e64_dpp v5, v1, v2 row_shr:1 row_mask:0xf bank_mask:0xf ; encoding: [0x05,0x00,0x1b,0xd5,0xfa,0x04,0x02,0x00,0x01,0x11,0x01,0xff]

v_and_b32_e64_dpp v5, v1, v2 row_shr:15
// GFX12: v_and_b32_e64_dpp v5, v1, v2 row_shr:15 row_mask:0xf bank_mask:0xf ; encoding: [0x05,0x00,0x1b,0xd5,0xfa,0x04,0x02,0x00,0x01,0x1f,0x01,0xff]

v_and_b32_e64_dpp v5, v1, v2 row_ror:1
// GFX12: v_and_b32_e64_dpp v5, v1, v2 row_ror:1 row_mask:0xf bank_mask:0xf ; encoding: [0x05,0x00,0x1b,0xd5,0xfa,0x04,0x02,0x00,0x01,0x21,0x01,0xff]

v_and_b32_e64_dpp v5, v1, v2 row_ror:15
// GFX12: v_and_b32_e64_dpp v5, v1, v2 row_ror:15 row_mask:0xf bank_mask:0xf ; encoding: [0x05,0x00,0x1b,0xd5,0xfa,0x04,0x02,0x00,0x01,0x2f,0x01,0xff]

v_and_b32_e64_dpp v5, v1, v2 row_share:0 row_mask:0xf bank_mask:0xf
// GFX12: v_and_b32_e64_dpp v5, v1, v2 row_share:0 row_mask:0xf bank_mask:0xf ; encoding: [0x05,0x00,0x1b,0xd5,0xfa,0x04,0x02,0x00,0x01,0x50,0x01,0xff]

v_and_b32_e64_dpp v5, v1, v2 row_share:15 row_mask:0x0 bank_mask:0x1
// GFX12: v_and_b32_e64_dpp v5, v1, v2 row_share:15 row_mask:0x0 bank_mask:0x1 ; encoding: [0x05,0x00,0x1b,0xd5,0xfa,0x04,0x02,0x00,0x01,0x5f,0x01,0x01]

v_and_b32_e64_dpp v5, v1, v2 row_xmask:0 row_mask:0x1 bank_mask:0x3 bound_ctrl:1 fi:0
// GFX12: v_and_b32_e64_dpp v5, v1, v2 row_xmask:0 row_mask:0x1 bank_mask:0x3 bound_ctrl:1 ; encoding: [0x05,0x00,0x1b,0xd5,0xfa,0x04,0x02,0x00,0x01,0x60,0x09,0x13]

v_and_b32_e64_dpp v255, v255, v255 row_xmask:15 row_mask:0x3 bank_mask:0x0 bound_ctrl:0 fi:1
// GFX12: v_and_b32_e64_dpp v255, v255, v255 row_xmask:15 row_mask:0x3 bank_mask:0x0 fi:1 ; encoding: [0xff,0x00,0x1b,0xd5,0xfa,0xfe,0x03,0x00,0xff,0x6f,0x05,0x30]

v_ashrrev_i32_e64_dpp v5, v1, v2 quad_perm:[3,2,1,0]
// GFX12: v_ashrrev_i32_e64_dpp v5, v1, v2 quad_perm:[3,2,1,0] row_mask:0xf bank_mask:0xf ; encoding: [0x05,0x00,0x1a,0xd5,0xfa,0x04,0x02,0x00,0x01,0x1b,0x00,0xff]

v_ashrrev_i32_e64_dpp v5, v1, v2 quad_perm:[0,1,2,3]
// GFX12: v_ashrrev_i32_e64_dpp v5, v1, v2 quad_perm:[0,1,2,3] row_mask:0xf bank_mask:0xf ; encoding: [0x05,0x00,0x1a,0xd5,0xfa,0x04,0x02,0x00,0x01,0xe4,0x00,0xff]

v_ashrrev_i32_e64_dpp v5, v1, v2 row_mirror
// GFX12: v_ashrrev_i32_e64_dpp v5, v1, v2 row_mirror row_mask:0xf bank_mask:0xf ; encoding: [0x05,0x00,0x1a,0xd5,0xfa,0x04,0x02,0x00,0x01,0x40,0x01,0xff]

v_ashrrev_i32_e64_dpp v5, v1, v2 row_half_mirror
// GFX12: v_ashrrev_i32_e64_dpp v5, v1, v2 row_half_mirror row_mask:0xf bank_mask:0xf ; encoding: [0x05,0x00,0x1a,0xd5,0xfa,0x04,0x02,0x00,0x01,0x41,0x01,0xff]

v_ashrrev_i32_e64_dpp v5, v1, v2 row_shl:1
// GFX12: v_ashrrev_i32_e64_dpp v5, v1, v2 row_shl:1 row_mask:0xf bank_mask:0xf ; encoding: [0x05,0x00,0x1a,0xd5,0xfa,0x04,0x02,0x00,0x01,0x01,0x01,0xff]

v_ashrrev_i32_e64_dpp v5, v1, v2 row_shl:15
// GFX12: v_ashrrev_i32_e64_dpp v5, v1, v2 row_shl:15 row_mask:0xf bank_mask:0xf ; encoding: [0x05,0x00,0x1a,0xd5,0xfa,0x04,0x02,0x00,0x01,0x0f,0x01,0xff]
	;; [unrolled: 3-line block ×4, first 2 shown]

v_ashrrev_i32_e64_dpp v5, v1, v2 row_shr:1
// GFX12: v_ashrrev_i32_e64_dpp v5, v1, v2 row_shr:1 row_mask:0xf bank_mask:0xf ; encoding: [0x05,0x00,0x1a,0xd5,0xfa,0x04,0x02,0x00,0x01,0x11,0x01,0xff]

v_ashrrev_i32_e64_dpp v5, v1, v2 row_shr:15
// GFX12: v_ashrrev_i32_e64_dpp v5, v1, v2 row_shr:15 row_mask:0xf bank_mask:0xf ; encoding: [0x05,0x00,0x1a,0xd5,0xfa,0x04,0x02,0x00,0x01,0x1f,0x01,0xff]

v_ashrrev_i32_e64_dpp v5, v1, v2 row_ror:1
// GFX12: v_ashrrev_i32_e64_dpp v5, v1, v2 row_ror:1 row_mask:0xf bank_mask:0xf ; encoding: [0x05,0x00,0x1a,0xd5,0xfa,0x04,0x02,0x00,0x01,0x21,0x01,0xff]

v_ashrrev_i32_e64_dpp v5, v1, v2 row_ror:15
// GFX12: v_ashrrev_i32_e64_dpp v5, v1, v2 row_ror:15 row_mask:0xf bank_mask:0xf ; encoding: [0x05,0x00,0x1a,0xd5,0xfa,0x04,0x02,0x00,0x01,0x2f,0x01,0xff]

v_ashrrev_i32_e64_dpp v5, v1, v2 row_share:0 row_mask:0xf bank_mask:0xf
// GFX12: v_ashrrev_i32_e64_dpp v5, v1, v2 row_share:0 row_mask:0xf bank_mask:0xf ; encoding: [0x05,0x00,0x1a,0xd5,0xfa,0x04,0x02,0x00,0x01,0x50,0x01,0xff]

v_ashrrev_i32_e64_dpp v5, v1, v2 row_share:15 row_mask:0x0 bank_mask:0x1
// GFX12: v_ashrrev_i32_e64_dpp v5, v1, v2 row_share:15 row_mask:0x0 bank_mask:0x1 ; encoding: [0x05,0x00,0x1a,0xd5,0xfa,0x04,0x02,0x00,0x01,0x5f,0x01,0x01]

v_ashrrev_i32_e64_dpp v5, v1, v2 row_xmask:0 row_mask:0x1 bank_mask:0x3 bound_ctrl:1 fi:0
// GFX12: v_ashrrev_i32_e64_dpp v5, v1, v2 row_xmask:0 row_mask:0x1 bank_mask:0x3 bound_ctrl:1 ; encoding: [0x05,0x00,0x1a,0xd5,0xfa,0x04,0x02,0x00,0x01,0x60,0x09,0x13]

v_ashrrev_i32_e64_dpp v255, v255, v255 row_xmask:15 row_mask:0x3 bank_mask:0x0 bound_ctrl:0 fi:1
// GFX12: v_ashrrev_i32_e64_dpp v255, v255, v255 row_xmask:15 row_mask:0x3 bank_mask:0x0 fi:1 ; encoding: [0xff,0x00,0x1a,0xd5,0xfa,0xfe,0x03,0x00,0xff,0x6f,0x05,0x30]

v_cndmask_b32_e64_dpp v5, v1, v2, s3 quad_perm:[3,2,1,0]
// W32: v_cndmask_b32_e64_dpp v5, v1, v2, s3 quad_perm:[3,2,1,0] row_mask:0xf bank_mask:0xf ; encoding: [0x05,0x00,0x01,0xd5,0xfa,0x04,0x0e,0x00,0x01,0x1b,0x00,0xff]
// W64-ERR: :[[@LINE-2]]:35: error: invalid operand for instruction

v_cndmask_b32_e64_dpp v5, v1, v2, s3 quad_perm:[0,1,2,3]
// W32: v_cndmask_b32_e64_dpp v5, v1, v2, s3 quad_perm:[0,1,2,3] row_mask:0xf bank_mask:0xf ; encoding: [0x05,0x00,0x01,0xd5,0xfa,0x04,0x0e,0x00,0x01,0xe4,0x00,0xff]
// W64-ERR: :[[@LINE-2]]:35: error: invalid operand for instruction

v_cndmask_b32_e64_dpp v5, v1, v2, s3 row_mirror
// W32: v_cndmask_b32_e64_dpp v5, v1, v2, s3 row_mirror row_mask:0xf bank_mask:0xf ; encoding: [0x05,0x00,0x01,0xd5,0xfa,0x04,0x0e,0x00,0x01,0x40,0x01,0xff]
// W64-ERR: :[[@LINE-2]]:35: error: invalid operand for instruction

v_cndmask_b32_e64_dpp v5, v1, v2, s3 row_half_mirror
// W32: v_cndmask_b32_e64_dpp v5, v1, v2, s3 row_half_mirror row_mask:0xf bank_mask:0xf ; encoding: [0x05,0x00,0x01,0xd5,0xfa,0x04,0x0e,0x00,0x01,0x41,0x01,0xff]
// W64-ERR: :[[@LINE-2]]:35: error: invalid operand for instruction

v_cndmask_b32_e64_dpp v5, v1, v2, s3 row_shl:1
// W32: v_cndmask_b32_e64_dpp v5, v1, v2, s3 row_shl:1 row_mask:0xf bank_mask:0xf ; encoding: [0x05,0x00,0x01,0xd5,0xfa,0x04,0x0e,0x00,0x01,0x01,0x01,0xff]
// W64-ERR: :[[@LINE-2]]:35: error: invalid operand for instruction

v_cndmask_b32_e64_dpp v5, v1, v2, s3 row_shl:15
// W32: v_cndmask_b32_e64_dpp v5, v1, v2, s3 row_shl:15 row_mask:0xf bank_mask:0xf ; encoding: [0x05,0x00,0x01,0xd5,0xfa,0x04,0x0e,0x00,0x01,0x0f,0x01,0xff]
// W64-ERR: :[[@LINE-2]]:35: error: invalid operand for instruction

v_cndmask_b32_e64_dpp v5, v1, v2, s3 row_shr:1
// W32: v_cndmask_b32_e64_dpp v5, v1, v2, s3 row_shr:1 row_mask:0xf bank_mask:0xf ; encoding: [0x05,0x00,0x01,0xd5,0xfa,0x04,0x0e,0x00,0x01,0x11,0x01,0xff]
// W64-ERR: :[[@LINE-2]]:35: error: invalid operand for instruction

v_cndmask_b32_e64_dpp v5, v1, v2, s3 row_shr:15
// W32: v_cndmask_b32_e64_dpp v5, v1, v2, s3 row_shr:15 row_mask:0xf bank_mask:0xf ; encoding: [0x05,0x00,0x01,0xd5,0xfa,0x04,0x0e,0x00,0x01,0x1f,0x01,0xff]
// W64-ERR: :[[@LINE-2]]:35: error: invalid operand for instruction

v_cndmask_b32_e64_dpp v5, v1, v2, s3 row_ror:1
// W32: v_cndmask_b32_e64_dpp v5, v1, v2, s3 row_ror:1 row_mask:0xf bank_mask:0xf ; encoding: [0x05,0x00,0x01,0xd5,0xfa,0x04,0x0e,0x00,0x01,0x21,0x01,0xff]
// W64-ERR: :[[@LINE-2]]:35: error: invalid operand for instruction

v_cndmask_b32_e64_dpp v5, v1, v2, s105 row_ror:15
// W32: v_cndmask_b32_e64_dpp v5, v1, v2, s105 row_ror:15 row_mask:0xf bank_mask:0xf ; encoding: [0x05,0x00,0x01,0xd5,0xfa,0x04,0xa6,0x01,0x01,0x2f,0x01,0xff]
// W64-ERR: :[[@LINE-2]]:35: error: invalid operand for instruction

v_cndmask_b32_e64_dpp v5, v1, v2, vcc_hi row_share:0 row_mask:0xf bank_mask:0xf
// W32: v_cndmask_b32_e64_dpp v5, v1, v2, vcc_hi row_share:0 row_mask:0xf bank_mask:0xf ; encoding: [0x05,0x00,0x01,0xd5,0xfa,0x04,0xae,0x01,0x01,0x50,0x01,0xff]
// W64-ERR: :[[@LINE-2]]:35: error: invalid operand for instruction

v_cndmask_b32_e64_dpp v5, |v1|, -v2, vcc_lo row_share:15 row_mask:0x0 bank_mask:0x1
// W32: v_cndmask_b32_e64_dpp v5, |v1|, -v2, vcc_lo row_share:15 row_mask:0x0 bank_mask:0x1 ; encoding: [0x05,0x01,0x01,0xd5,0xfa,0x04,0xaa,0x41,0x01,0x5f,0x01,0x01]
// W64-ERR: :[[@LINE-2]]:38: error: invalid operand for instruction

v_cndmask_b32_e64_dpp v5, -v1, |v2|, ttmp15 row_xmask:0 row_mask:0x1 bank_mask:0x3 bound_ctrl:1 fi:0
// W32: v_cndmask_b32_e64_dpp v5, -v1, |v2|, ttmp15 row_xmask:0 row_mask:0x1 bank_mask:0x3 bound_ctrl:1 ; encoding: [0x05,0x02,0x01,0xd5,0xfa,0x04,0xee,0x21,0x01,0x60,0x09,0x13]
// W64-ERR: :[[@LINE-2]]:38: error: invalid operand for instruction

v_cndmask_b32_e64_dpp v5, v1, v2, s[6:7] quad_perm:[3,2,1,0]
// W32-ERR: :[[@LINE-1]]:35: error: invalid operand for instruction
// W64: v_cndmask_b32_e64_dpp v5, v1, v2, s[6:7] quad_perm:[3,2,1,0] row_mask:0xf bank_mask:0xf ; encoding: [0x05,0x00,0x01,0xd5,0xfa,0x04,0x1a,0x00,0x01,0x1b,0x00,0xff]

v_cndmask_b32_e64_dpp v5, v1, v2, s[6:7] quad_perm:[0,1,2,3]
// W32-ERR: :[[@LINE-1]]:35: error: invalid operand for instruction
// W64: v_cndmask_b32_e64_dpp v5, v1, v2, s[6:7] quad_perm:[0,1,2,3] row_mask:0xf bank_mask:0xf ; encoding: [0x05,0x00,0x01,0xd5,0xfa,0x04,0x1a,0x00,0x01,0xe4,0x00,0xff]

v_cndmask_b32_e64_dpp v5, v1, v2, s[6:7] row_mirror
// W32-ERR: :[[@LINE-1]]:35: error: invalid operand for instruction
// W64: v_cndmask_b32_e64_dpp v5, v1, v2, s[6:7] row_mirror row_mask:0xf bank_mask:0xf ; encoding: [0x05,0x00,0x01,0xd5,0xfa,0x04,0x1a,0x00,0x01,0x40,0x01,0xff]

v_cndmask_b32_e64_dpp v5, v1, v2, s[6:7] row_half_mirror
// W32-ERR: :[[@LINE-1]]:35: error: invalid operand for instruction
// W64: v_cndmask_b32_e64_dpp v5, v1, v2, s[6:7] row_half_mirror row_mask:0xf bank_mask:0xf ; encoding: [0x05,0x00,0x01,0xd5,0xfa,0x04,0x1a,0x00,0x01,0x41,0x01,0xff]

v_cndmask_b32_e64_dpp v5, v1, v2, s[6:7] row_shl:1
// W32-ERR: :[[@LINE-1]]:35: error: invalid operand for instruction
// W64: v_cndmask_b32_e64_dpp v5, v1, v2, s[6:7] row_shl:1 row_mask:0xf bank_mask:0xf ; encoding: [0x05,0x00,0x01,0xd5,0xfa,0x04,0x1a,0x00,0x01,0x01,0x01,0xff]

v_cndmask_b32_e64_dpp v5, v1, v2, s[6:7] row_shl:15
// W32-ERR: :[[@LINE-1]]:35: error: invalid operand for instruction
// W64: v_cndmask_b32_e64_dpp v5, v1, v2, s[6:7] row_shl:15 row_mask:0xf bank_mask:0xf ; encoding: [0x05,0x00,0x01,0xd5,0xfa,0x04,0x1a,0x00,0x01,0x0f,0x01,0xff]

v_cndmask_b32_e64_dpp v5, v1, v2, s[6:7] row_shr:1
// W32-ERR: :[[@LINE-1]]:35: error: invalid operand for instruction
// W64: v_cndmask_b32_e64_dpp v5, v1, v2, s[6:7] row_shr:1 row_mask:0xf bank_mask:0xf ; encoding: [0x05,0x00,0x01,0xd5,0xfa,0x04,0x1a,0x00,0x01,0x11,0x01,0xff]

v_cndmask_b32_e64_dpp v5, v1, v2, s[6:7] row_shr:15
// W32-ERR: :[[@LINE-1]]:35: error: invalid operand for instruction
// W64: v_cndmask_b32_e64_dpp v5, v1, v2, s[6:7] row_shr:15 row_mask:0xf bank_mask:0xf ; encoding: [0x05,0x00,0x01,0xd5,0xfa,0x04,0x1a,0x00,0x01,0x1f,0x01,0xff]

v_cndmask_b32_e64_dpp v5, v1, v2, s[6:7] row_ror:1
// W32-ERR: :[[@LINE-1]]:35: error: invalid operand for instruction
// W64: v_cndmask_b32_e64_dpp v5, v1, v2, s[6:7] row_ror:1 row_mask:0xf bank_mask:0xf ; encoding: [0x05,0x00,0x01,0xd5,0xfa,0x04,0x1a,0x00,0x01,0x21,0x01,0xff]

v_cndmask_b32_e64_dpp v5, v1, v2, s[6:7] row_ror:15
// W32-ERR: :[[@LINE-1]]:35: error: invalid operand for instruction
// W64: v_cndmask_b32_e64_dpp v5, v1, v2, s[6:7] row_ror:15 row_mask:0xf bank_mask:0xf ; encoding: [0x05,0x00,0x01,0xd5,0xfa,0x04,0x1a,0x00,0x01,0x2f,0x01,0xff]

v_cndmask_b32_e64_dpp v5, v1, v2, s[104:105] row_share:0 row_mask:0xf bank_mask:0xf
// W32-ERR: :[[@LINE-1]]:35: error: invalid operand for instruction
// W64: v_cndmask_b32_e64_dpp v5, v1, v2, s[104:105] row_share:0 row_mask:0xf bank_mask:0xf ; encoding: [0x05,0x00,0x01,0xd5,0xfa,0x04,0xa2,0x01,0x01,0x50,0x01,0xff]

v_cndmask_b32_e64_dpp v5, |v1|, -v2, vcc row_share:15 row_mask:0x0 bank_mask:0x1
// W32-ERR: :[[@LINE-1]]:38: error: invalid operand for instruction
// W64: v_cndmask_b32_e64_dpp v5, |v1|, -v2, vcc row_share:15 row_mask:0x0 bank_mask:0x1 ; encoding: [0x05,0x01,0x01,0xd5,0xfa,0x04,0xaa,0x41,0x01,0x5f,0x01,0x01]

v_cndmask_b32_e64_dpp v5, -v1, |v2|, ttmp[14:15] row_xmask:0 row_mask:0x1 bank_mask:0x3 bound_ctrl:1 fi:0
// W32-ERR: :[[@LINE-1]]:38: error: invalid operand for instruction
// W64: v_cndmask_b32_e64_dpp v5, -v1, |v2|, ttmp[14:15] row_xmask:0 row_mask:0x1 bank_mask:0x3 bound_ctrl:1 ; encoding: [0x05,0x02,0x01,0xd5,0xfa,0x04,0xea,0x21,0x01,0x60,0x09,0x13]

v_cndmask_b32_e64_dpp v255, -|v255|, -|v255|, null row_xmask:15 row_mask:0x3 bank_mask:0x0 bound_ctrl:0 fi:1
// GFX12: v_cndmask_b32_e64_dpp v255, -|v255|, -|v255|, null row_xmask:15 row_mask:0x3 bank_mask:0x0 fi:1 ; encoding: [0xff,0x03,0x01,0xd5,0xfa,0xfe,0xf3,0x61,0xff,0x6f,0x05,0x30]

v_cvt_pk_rtz_f16_f32_e64_dpp v5, v1, v2 quad_perm:[3,2,1,0]
// GFX12: v_cvt_pk_rtz_f16_f32_e64_dpp v5, v1, v2 quad_perm:[3,2,1,0] row_mask:0xf bank_mask:0xf ; encoding: [0x05,0x00,0x2f,0xd5,0xfa,0x04,0x02,0x00,0x01,0x1b,0x00,0xff]

v_cvt_pk_rtz_f16_f32_e64_dpp v5, v1, v2 quad_perm:[0,1,2,3]
// GFX12: v_cvt_pk_rtz_f16_f32_e64_dpp v5, v1, v2 quad_perm:[0,1,2,3] row_mask:0xf bank_mask:0xf ; encoding: [0x05,0x00,0x2f,0xd5,0xfa,0x04,0x02,0x00,0x01,0xe4,0x00,0xff]

v_cvt_pk_rtz_f16_f32_e64_dpp v5, v1, v2 row_mirror
// GFX12: v_cvt_pk_rtz_f16_f32_e64_dpp v5, v1, v2 row_mirror row_mask:0xf bank_mask:0xf ; encoding: [0x05,0x00,0x2f,0xd5,0xfa,0x04,0x02,0x00,0x01,0x40,0x01,0xff]

v_cvt_pk_rtz_f16_f32_e64_dpp v5, v1, v2 row_half_mirror
// GFX12: v_cvt_pk_rtz_f16_f32_e64_dpp v5, v1, v2 row_half_mirror row_mask:0xf bank_mask:0xf ; encoding: [0x05,0x00,0x2f,0xd5,0xfa,0x04,0x02,0x00,0x01,0x41,0x01,0xff]

v_cvt_pk_rtz_f16_f32_e64_dpp v5, v1, v2 row_shl:1
// GFX12: v_cvt_pk_rtz_f16_f32_e64_dpp v5, v1, v2 row_shl:1 row_mask:0xf bank_mask:0xf ; encoding: [0x05,0x00,0x2f,0xd5,0xfa,0x04,0x02,0x00,0x01,0x01,0x01,0xff]

v_cvt_pk_rtz_f16_f32_e64_dpp v5, v1, v2 row_shl:15
// GFX12: v_cvt_pk_rtz_f16_f32_e64_dpp v5, v1, v2 row_shl:15 row_mask:0xf bank_mask:0xf ; encoding: [0x05,0x00,0x2f,0xd5,0xfa,0x04,0x02,0x00,0x01,0x0f,0x01,0xff]
	;; [unrolled: 3-line block ×3, first 2 shown]

v_cvt_pk_rtz_f16_f32_e64_dpp v5, v1, 2.0 row_shl:15
// GFX12: v_cvt_pk_rtz_f16_f32_e64_dpp v5, v1, 2.0 row_shl:15 row_mask:0xf bank_mask:0xf ; encoding: [0x05,0x00,0x2f,0xd5,0xfa,0xe8,0x01,0x00,0x01,0x0f,0x01,0xff]

v_cvt_pk_rtz_f16_f32_e64_dpp v5, v1, v2 row_shr:1
// GFX12: v_cvt_pk_rtz_f16_f32_e64_dpp v5, v1, v2 row_shr:1 row_mask:0xf bank_mask:0xf ; encoding: [0x05,0x00,0x2f,0xd5,0xfa,0x04,0x02,0x00,0x01,0x11,0x01,0xff]

v_cvt_pk_rtz_f16_f32_e64_dpp v5, v1, v2 row_shr:15
// GFX12: v_cvt_pk_rtz_f16_f32_e64_dpp v5, v1, v2 row_shr:15 row_mask:0xf bank_mask:0xf ; encoding: [0x05,0x00,0x2f,0xd5,0xfa,0x04,0x02,0x00,0x01,0x1f,0x01,0xff]

v_cvt_pk_rtz_f16_f32_e64_dpp v5, v1, v2 row_ror:1
// GFX12: v_cvt_pk_rtz_f16_f32_e64_dpp v5, v1, v2 row_ror:1 row_mask:0xf bank_mask:0xf ; encoding: [0x05,0x00,0x2f,0xd5,0xfa,0x04,0x02,0x00,0x01,0x21,0x01,0xff]

v_cvt_pk_rtz_f16_f32_e64_dpp v5, v1, v2 row_ror:15
// GFX12: v_cvt_pk_rtz_f16_f32_e64_dpp v5, v1, v2 row_ror:15 row_mask:0xf bank_mask:0xf ; encoding: [0x05,0x00,0x2f,0xd5,0xfa,0x04,0x02,0x00,0x01,0x2f,0x01,0xff]

v_cvt_pk_rtz_f16_f32_e64_dpp v5, v1, v2 row_share:0 row_mask:0xf bank_mask:0xf
// GFX12: v_cvt_pk_rtz_f16_f32_e64_dpp v5, v1, v2 row_share:0 row_mask:0xf bank_mask:0xf ; encoding: [0x05,0x00,0x2f,0xd5,0xfa,0x04,0x02,0x00,0x01,0x50,0x01,0xff]

v_cvt_pk_rtz_f16_f32_e64_dpp v5, |v1|, -v2 row_share:15 row_mask:0x0 bank_mask:0x1
// GFX12: v_cvt_pk_rtz_f16_f32_e64_dpp v5, |v1|, -v2 row_share:15 row_mask:0x0 bank_mask:0x1 ; encoding: [0x05,0x01,0x2f,0xd5,0xfa,0x04,0x02,0x40,0x01,0x5f,0x01,0x01]

v_cvt_pk_rtz_f16_f32_e64_dpp v5, -v1, |v2| row_xmask:0 row_mask:0x1 bank_mask:0x3 bound_ctrl:1 fi:0
// GFX12: v_cvt_pk_rtz_f16_f32_e64_dpp v5, -v1, |v2| row_xmask:0 row_mask:0x1 bank_mask:0x3 bound_ctrl:1 ; encoding: [0x05,0x02,0x2f,0xd5,0xfa,0x04,0x02,0x20,0x01,0x60,0x09,0x13]

v_cvt_pk_rtz_f16_f32_e64_dpp v255, -|v255|, -|v255| clamp row_xmask:15 row_mask:0x3 bank_mask:0x0 bound_ctrl:0 fi:1
// GFX12: v_cvt_pk_rtz_f16_f32_e64_dpp v255, -|v255|, -|v255| clamp row_xmask:15 row_mask:0x3 bank_mask:0x0 fi:1 ; encoding: [0xff,0x83,0x2f,0xd5,0xfa,0xfe,0x03,0x60,0xff,0x6f,0x05,0x30]

v_cvt_pkrtz_f16_f32_e64_dpp v5, v1, v2 quad_perm:[3,2,1,0]
// GFX12: v_cvt_pk_rtz_f16_f32_e64_dpp v5, v1, v2 quad_perm:[3,2,1,0] row_mask:0xf bank_mask:0xf ; encoding: [0x05,0x00,0x2f,0xd5,0xfa,0x04,0x02,0x00,0x01,0x1b,0x00,0xff]

v_cvt_pkrtz_f16_f32_e64_dpp v5, v1, v2 quad_perm:[0,1,2,3]
// GFX12: v_cvt_pk_rtz_f16_f32_e64_dpp v5, v1, v2 quad_perm:[0,1,2,3] row_mask:0xf bank_mask:0xf ; encoding: [0x05,0x00,0x2f,0xd5,0xfa,0x04,0x02,0x00,0x01,0xe4,0x00,0xff]

v_cvt_pkrtz_f16_f32_e64_dpp v5, v1, v2 row_mirror
// GFX12: v_cvt_pk_rtz_f16_f32_e64_dpp v5, v1, v2 row_mirror row_mask:0xf bank_mask:0xf ; encoding: [0x05,0x00,0x2f,0xd5,0xfa,0x04,0x02,0x00,0x01,0x40,0x01,0xff]

v_cvt_pkrtz_f16_f32_e64_dpp v5, v1, v2 row_half_mirror
// GFX12: v_cvt_pk_rtz_f16_f32_e64_dpp v5, v1, v2 row_half_mirror row_mask:0xf bank_mask:0xf ; encoding: [0x05,0x00,0x2f,0xd5,0xfa,0x04,0x02,0x00,0x01,0x41,0x01,0xff]

v_cvt_pkrtz_f16_f32_e64_dpp v5, v1, v2 row_shl:1
// GFX12: v_cvt_pk_rtz_f16_f32_e64_dpp v5, v1, v2 row_shl:1 row_mask:0xf bank_mask:0xf ; encoding: [0x05,0x00,0x2f,0xd5,0xfa,0x04,0x02,0x00,0x01,0x01,0x01,0xff]

v_cvt_pkrtz_f16_f32_e64_dpp v5, v1, v2 row_shl:15
// GFX12: v_cvt_pk_rtz_f16_f32_e64_dpp v5, v1, v2 row_shl:15 row_mask:0xf bank_mask:0xf ; encoding: [0x05,0x00,0x2f,0xd5,0xfa,0x04,0x02,0x00,0x01,0x0f,0x01,0xff]
	;; [unrolled: 3-line block ×3, first 2 shown]

v_cvt_pkrtz_f16_f32_e64_dpp v5, v1, 2.0 row_shl:15
// GFX12: v_cvt_pk_rtz_f16_f32_e64_dpp v5, v1, 2.0 row_shl:15 row_mask:0xf bank_mask:0xf ; encoding: [0x05,0x00,0x2f,0xd5,0xfa,0xe8,0x01,0x00,0x01,0x0f,0x01,0xff]

v_cvt_pkrtz_f16_f32_e64_dpp v5, v1, v2 row_shr:1
// GFX12: v_cvt_pk_rtz_f16_f32_e64_dpp v5, v1, v2 row_shr:1 row_mask:0xf bank_mask:0xf ; encoding: [0x05,0x00,0x2f,0xd5,0xfa,0x04,0x02,0x00,0x01,0x11,0x01,0xff]

v_cvt_pkrtz_f16_f32_e64_dpp v5, v1, v2 row_shr:15
// GFX12: v_cvt_pk_rtz_f16_f32_e64_dpp v5, v1, v2 row_shr:15 row_mask:0xf bank_mask:0xf ; encoding: [0x05,0x00,0x2f,0xd5,0xfa,0x04,0x02,0x00,0x01,0x1f,0x01,0xff]

v_cvt_pkrtz_f16_f32_e64_dpp v5, v1, v2 row_ror:1
// GFX12: v_cvt_pk_rtz_f16_f32_e64_dpp v5, v1, v2 row_ror:1 row_mask:0xf bank_mask:0xf ; encoding: [0x05,0x00,0x2f,0xd5,0xfa,0x04,0x02,0x00,0x01,0x21,0x01,0xff]

v_cvt_pkrtz_f16_f32_e64_dpp v5, v1, v2 row_ror:15
// GFX12: v_cvt_pk_rtz_f16_f32_e64_dpp v5, v1, v2 row_ror:15 row_mask:0xf bank_mask:0xf ; encoding: [0x05,0x00,0x2f,0xd5,0xfa,0x04,0x02,0x00,0x01,0x2f,0x01,0xff]

v_cvt_pkrtz_f16_f32_e64_dpp v5, v1, v2 row_share:0 row_mask:0xf bank_mask:0xf
// GFX12: v_cvt_pk_rtz_f16_f32_e64_dpp v5, v1, v2 row_share:0 row_mask:0xf bank_mask:0xf ; encoding: [0x05,0x00,0x2f,0xd5,0xfa,0x04,0x02,0x00,0x01,0x50,0x01,0xff]

v_cvt_pkrtz_f16_f32_e64_dpp v5, |v1|, -v2 row_share:15 row_mask:0x0 bank_mask:0x1
// GFX12: v_cvt_pk_rtz_f16_f32_e64_dpp v5, |v1|, -v2 row_share:15 row_mask:0x0 bank_mask:0x1 ; encoding: [0x05,0x01,0x2f,0xd5,0xfa,0x04,0x02,0x40,0x01,0x5f,0x01,0x01]

v_cvt_pkrtz_f16_f32_e64_dpp v5, -v1, |v2| row_xmask:0 row_mask:0x1 bank_mask:0x3 bound_ctrl:1 fi:0
// GFX12: v_cvt_pk_rtz_f16_f32_e64_dpp v5, -v1, |v2| row_xmask:0 row_mask:0x1 bank_mask:0x3 bound_ctrl:1 ; encoding: [0x05,0x02,0x2f,0xd5,0xfa,0x04,0x02,0x20,0x01,0x60,0x09,0x13]

v_cvt_pkrtz_f16_f32_e64_dpp v255, -|v255|, -|v255| clamp row_xmask:15 row_mask:0x3 bank_mask:0x0 bound_ctrl:0 fi:1
// GFX12: v_cvt_pk_rtz_f16_f32_e64_dpp v255, -|v255|, -|v255| clamp row_xmask:15 row_mask:0x3 bank_mask:0x0 fi:1 ; encoding: [0xff,0x83,0x2f,0xd5,0xfa,0xfe,0x03,0x60,0xff,0x6f,0x05,0x30]

v_ldexp_f16_e64_dpp v5, v1, v2 quad_perm:[3,2,1,0]
// GFX12: v_ldexp_f16_e64_dpp v5, v1, v2 quad_perm:[3,2,1,0] row_mask:0xf bank_mask:0xf ; encoding: [0x05,0x00,0x3b,0xd5,0xfa,0x04,0x02,0x00,0x01,0x1b,0x00,0xff]

v_ldexp_f16_e64_dpp v5, v1, v2 quad_perm:[0,1,2,3]
// GFX12: v_ldexp_f16_e64_dpp v5, v1, v2 quad_perm:[0,1,2,3] row_mask:0xf bank_mask:0xf ; encoding: [0x05,0x00,0x3b,0xd5,0xfa,0x04,0x02,0x00,0x01,0xe4,0x00,0xff]

v_ldexp_f16_e64_dpp v5, v1, v2 row_mirror
// GFX12: v_ldexp_f16_e64_dpp v5, v1, v2 row_mirror row_mask:0xf bank_mask:0xf ; encoding: [0x05,0x00,0x3b,0xd5,0xfa,0x04,0x02,0x00,0x01,0x40,0x01,0xff]

v_ldexp_f16_e64_dpp v5, v1, v2 row_half_mirror
// GFX12: v_ldexp_f16_e64_dpp v5, v1, v2 row_half_mirror row_mask:0xf bank_mask:0xf ; encoding: [0x05,0x00,0x3b,0xd5,0xfa,0x04,0x02,0x00,0x01,0x41,0x01,0xff]

v_ldexp_f16_e64_dpp v5, v1, v2 row_shl:1
// GFX12: v_ldexp_f16_e64_dpp v5, v1, v2 row_shl:1 row_mask:0xf bank_mask:0xf ; encoding: [0x05,0x00,0x3b,0xd5,0xfa,0x04,0x02,0x00,0x01,0x01,0x01,0xff]

v_ldexp_f16_e64_dpp v5, v1, v2 row_shl:15
// GFX12: v_ldexp_f16_e64_dpp v5, v1, v2 row_shl:15 row_mask:0xf bank_mask:0xf ; encoding: [0x05,0x00,0x3b,0xd5,0xfa,0x04,0x02,0x00,0x01,0x0f,0x01,0xff]
	;; [unrolled: 3-line block ×3, first 2 shown]

v_ldexp_f16_e64_dpp v5, v1, 2.0 row_shl:15
// GFX12: v_ldexp_f16_e64_dpp v5, v1, 2.0 row_shl:15 row_mask:0xf bank_mask:0xf ; encoding: [0x05,0x00,0x3b,0xd5,0xfa,0xe8,0x01,0x00,0x01,0x0f,0x01,0xff]

v_ldexp_f16_e64_dpp v5, v1, v2 row_shr:1
// GFX12: v_ldexp_f16_e64_dpp v5, v1, v2 row_shr:1 row_mask:0xf bank_mask:0xf ; encoding: [0x05,0x00,0x3b,0xd5,0xfa,0x04,0x02,0x00,0x01,0x11,0x01,0xff]

v_ldexp_f16_e64_dpp v5, v1, v2 row_shr:15
// GFX12: v_ldexp_f16_e64_dpp v5, v1, v2 row_shr:15 row_mask:0xf bank_mask:0xf ; encoding: [0x05,0x00,0x3b,0xd5,0xfa,0x04,0x02,0x00,0x01,0x1f,0x01,0xff]

v_ldexp_f16_e64_dpp v5, v1, v2 row_ror:1
// GFX12: v_ldexp_f16_e64_dpp v5, v1, v2 row_ror:1 row_mask:0xf bank_mask:0xf ; encoding: [0x05,0x00,0x3b,0xd5,0xfa,0x04,0x02,0x00,0x01,0x21,0x01,0xff]

v_ldexp_f16_e64_dpp v5, v1, v2 row_ror:15
// GFX12: v_ldexp_f16_e64_dpp v5, v1, v2 row_ror:15 row_mask:0xf bank_mask:0xf ; encoding: [0x05,0x00,0x3b,0xd5,0xfa,0x04,0x02,0x00,0x01,0x2f,0x01,0xff]

v_ldexp_f16_e64_dpp v5, v1, v2 row_share:0 row_mask:0xf bank_mask:0xf
// GFX12: v_ldexp_f16_e64_dpp v5, v1, v2 row_share:0 row_mask:0xf bank_mask:0xf ; encoding: [0x05,0x00,0x3b,0xd5,0xfa,0x04,0x02,0x00,0x01,0x50,0x01,0xff]

v_ldexp_f16_e64_dpp v5, v1, v2 mul:2 row_share:15 row_mask:0x0 bank_mask:0x1
// GFX12: v_ldexp_f16_e64_dpp v5, v1, v2 mul:2 row_share:15 row_mask:0x0 bank_mask:0x1 ; encoding: [0x05,0x00,0x3b,0xd5,0xfa,0x04,0x02,0x08,0x01,0x5f,0x01,0x01]

v_ldexp_f16_e64_dpp v5, v1, v2 mul:4 row_xmask:0 row_mask:0x1 bank_mask:0x3 bound_ctrl:1 fi:0
// GFX12: v_ldexp_f16_e64_dpp v5, v1, v2 mul:4 row_xmask:0 row_mask:0x1 bank_mask:0x3 bound_ctrl:1 ; encoding: [0x05,0x00,0x3b,0xd5,0xfa,0x04,0x02,0x10,0x01,0x60,0x09,0x13]

v_ldexp_f16_e64_dpp v255, -|v255|, v255 clamp div:2 row_xmask:15 row_mask:0x3 bank_mask:0x0 bound_ctrl:0 fi:1
// GFX12: v_ldexp_f16_e64_dpp v255, -|v255|, v255 clamp div:2 row_xmask:15 row_mask:0x3 bank_mask:0x0 fi:1 ; encoding: [0xff,0x81,0x3b,0xd5,0xfa,0xfe,0x03,0x38,0xff,0x6f,0x05,0x30]

v_lshlrev_b32_e64_dpp v5, v1, v2 quad_perm:[3,2,1,0]
// GFX12: v_lshlrev_b32_e64_dpp v5, v1, v2 quad_perm:[3,2,1,0] row_mask:0xf bank_mask:0xf ; encoding: [0x05,0x00,0x18,0xd5,0xfa,0x04,0x02,0x00,0x01,0x1b,0x00,0xff]

v_lshlrev_b32_e64_dpp v5, v1, v2 quad_perm:[0,1,2,3]
// GFX12: v_lshlrev_b32_e64_dpp v5, v1, v2 quad_perm:[0,1,2,3] row_mask:0xf bank_mask:0xf ; encoding: [0x05,0x00,0x18,0xd5,0xfa,0x04,0x02,0x00,0x01,0xe4,0x00,0xff]

v_lshlrev_b32_e64_dpp v5, v1, v2 row_mirror
// GFX12: v_lshlrev_b32_e64_dpp v5, v1, v2 row_mirror row_mask:0xf bank_mask:0xf ; encoding: [0x05,0x00,0x18,0xd5,0xfa,0x04,0x02,0x00,0x01,0x40,0x01,0xff]

v_lshlrev_b32_e64_dpp v5, v1, v2 row_half_mirror
// GFX12: v_lshlrev_b32_e64_dpp v5, v1, v2 row_half_mirror row_mask:0xf bank_mask:0xf ; encoding: [0x05,0x00,0x18,0xd5,0xfa,0x04,0x02,0x00,0x01,0x41,0x01,0xff]

v_lshlrev_b32_e64_dpp v5, v1, v2 row_shl:1
// GFX12: v_lshlrev_b32_e64_dpp v5, v1, v2 row_shl:1 row_mask:0xf bank_mask:0xf ; encoding: [0x05,0x00,0x18,0xd5,0xfa,0x04,0x02,0x00,0x01,0x01,0x01,0xff]

v_lshlrev_b32_e64_dpp v5, v1, v2 row_shl:15
// GFX12: v_lshlrev_b32_e64_dpp v5, v1, v2 row_shl:15 row_mask:0xf bank_mask:0xf ; encoding: [0x05,0x00,0x18,0xd5,0xfa,0x04,0x02,0x00,0x01,0x0f,0x01,0xff]
	;; [unrolled: 3-line block ×4, first 2 shown]

v_lshlrev_b32_e64_dpp v5, v1, v2 row_shr:1
// GFX12: v_lshlrev_b32_e64_dpp v5, v1, v2 row_shr:1 row_mask:0xf bank_mask:0xf ; encoding: [0x05,0x00,0x18,0xd5,0xfa,0x04,0x02,0x00,0x01,0x11,0x01,0xff]

v_lshlrev_b32_e64_dpp v5, v1, v2 row_shr:15
// GFX12: v_lshlrev_b32_e64_dpp v5, v1, v2 row_shr:15 row_mask:0xf bank_mask:0xf ; encoding: [0x05,0x00,0x18,0xd5,0xfa,0x04,0x02,0x00,0x01,0x1f,0x01,0xff]

v_lshlrev_b32_e64_dpp v5, v1, v2 row_ror:1
// GFX12: v_lshlrev_b32_e64_dpp v5, v1, v2 row_ror:1 row_mask:0xf bank_mask:0xf ; encoding: [0x05,0x00,0x18,0xd5,0xfa,0x04,0x02,0x00,0x01,0x21,0x01,0xff]

v_lshlrev_b32_e64_dpp v5, v1, v2 row_ror:15
// GFX12: v_lshlrev_b32_e64_dpp v5, v1, v2 row_ror:15 row_mask:0xf bank_mask:0xf ; encoding: [0x05,0x00,0x18,0xd5,0xfa,0x04,0x02,0x00,0x01,0x2f,0x01,0xff]

v_lshlrev_b32_e64_dpp v5, v1, v2 row_share:0 row_mask:0xf bank_mask:0xf
// GFX12: v_lshlrev_b32_e64_dpp v5, v1, v2 row_share:0 row_mask:0xf bank_mask:0xf ; encoding: [0x05,0x00,0x18,0xd5,0xfa,0x04,0x02,0x00,0x01,0x50,0x01,0xff]

v_lshlrev_b32_e64_dpp v5, v1, v2 row_share:15 row_mask:0x0 bank_mask:0x1
// GFX12: v_lshlrev_b32_e64_dpp v5, v1, v2 row_share:15 row_mask:0x0 bank_mask:0x1 ; encoding: [0x05,0x00,0x18,0xd5,0xfa,0x04,0x02,0x00,0x01,0x5f,0x01,0x01]

v_lshlrev_b32_e64_dpp v5, v1, v2 row_xmask:0 row_mask:0x1 bank_mask:0x3 bound_ctrl:1 fi:0
// GFX12: v_lshlrev_b32_e64_dpp v5, v1, v2 row_xmask:0 row_mask:0x1 bank_mask:0x3 bound_ctrl:1 ; encoding: [0x05,0x00,0x18,0xd5,0xfa,0x04,0x02,0x00,0x01,0x60,0x09,0x13]

v_lshlrev_b32_e64_dpp v255, v255, v255 row_xmask:15 row_mask:0x3 bank_mask:0x0 bound_ctrl:0 fi:1
// GFX12: v_lshlrev_b32_e64_dpp v255, v255, v255 row_xmask:15 row_mask:0x3 bank_mask:0x0 fi:1 ; encoding: [0xff,0x00,0x18,0xd5,0xfa,0xfe,0x03,0x00,0xff,0x6f,0x05,0x30]

v_lshrrev_b32_e64_dpp v5, v1, v2 quad_perm:[3,2,1,0]
// GFX12: v_lshrrev_b32_e64_dpp v5, v1, v2 quad_perm:[3,2,1,0] row_mask:0xf bank_mask:0xf ; encoding: [0x05,0x00,0x19,0xd5,0xfa,0x04,0x02,0x00,0x01,0x1b,0x00,0xff]

v_lshrrev_b32_e64_dpp v5, v1, v2 quad_perm:[0,1,2,3]
// GFX12: v_lshrrev_b32_e64_dpp v5, v1, v2 quad_perm:[0,1,2,3] row_mask:0xf bank_mask:0xf ; encoding: [0x05,0x00,0x19,0xd5,0xfa,0x04,0x02,0x00,0x01,0xe4,0x00,0xff]

v_lshrrev_b32_e64_dpp v5, v1, v2 row_mirror
// GFX12: v_lshrrev_b32_e64_dpp v5, v1, v2 row_mirror row_mask:0xf bank_mask:0xf ; encoding: [0x05,0x00,0x19,0xd5,0xfa,0x04,0x02,0x00,0x01,0x40,0x01,0xff]

v_lshrrev_b32_e64_dpp v5, v1, v2 row_half_mirror
// GFX12: v_lshrrev_b32_e64_dpp v5, v1, v2 row_half_mirror row_mask:0xf bank_mask:0xf ; encoding: [0x05,0x00,0x19,0xd5,0xfa,0x04,0x02,0x00,0x01,0x41,0x01,0xff]

v_lshrrev_b32_e64_dpp v5, v1, v2 row_shl:1
// GFX12: v_lshrrev_b32_e64_dpp v5, v1, v2 row_shl:1 row_mask:0xf bank_mask:0xf ; encoding: [0x05,0x00,0x19,0xd5,0xfa,0x04,0x02,0x00,0x01,0x01,0x01,0xff]

v_lshrrev_b32_e64_dpp v5, v1, v2 row_shl:15
// GFX12: v_lshrrev_b32_e64_dpp v5, v1, v2 row_shl:15 row_mask:0xf bank_mask:0xf ; encoding: [0x05,0x00,0x19,0xd5,0xfa,0x04,0x02,0x00,0x01,0x0f,0x01,0xff]
	;; [unrolled: 3-line block ×4, first 2 shown]

v_lshrrev_b32_e64_dpp v5, v1, v2 row_shr:1
// GFX12: v_lshrrev_b32_e64_dpp v5, v1, v2 row_shr:1 row_mask:0xf bank_mask:0xf ; encoding: [0x05,0x00,0x19,0xd5,0xfa,0x04,0x02,0x00,0x01,0x11,0x01,0xff]

v_lshrrev_b32_e64_dpp v5, v1, v2 row_shr:15
// GFX12: v_lshrrev_b32_e64_dpp v5, v1, v2 row_shr:15 row_mask:0xf bank_mask:0xf ; encoding: [0x05,0x00,0x19,0xd5,0xfa,0x04,0x02,0x00,0x01,0x1f,0x01,0xff]

v_lshrrev_b32_e64_dpp v5, v1, v2 row_ror:1
// GFX12: v_lshrrev_b32_e64_dpp v5, v1, v2 row_ror:1 row_mask:0xf bank_mask:0xf ; encoding: [0x05,0x00,0x19,0xd5,0xfa,0x04,0x02,0x00,0x01,0x21,0x01,0xff]

v_lshrrev_b32_e64_dpp v5, v1, v2 row_ror:15
// GFX12: v_lshrrev_b32_e64_dpp v5, v1, v2 row_ror:15 row_mask:0xf bank_mask:0xf ; encoding: [0x05,0x00,0x19,0xd5,0xfa,0x04,0x02,0x00,0x01,0x2f,0x01,0xff]

v_lshrrev_b32_e64_dpp v5, v1, v2 row_share:0 row_mask:0xf bank_mask:0xf
// GFX12: v_lshrrev_b32_e64_dpp v5, v1, v2 row_share:0 row_mask:0xf bank_mask:0xf ; encoding: [0x05,0x00,0x19,0xd5,0xfa,0x04,0x02,0x00,0x01,0x50,0x01,0xff]

v_lshrrev_b32_e64_dpp v5, v1, v2 row_share:15 row_mask:0x0 bank_mask:0x1
// GFX12: v_lshrrev_b32_e64_dpp v5, v1, v2 row_share:15 row_mask:0x0 bank_mask:0x1 ; encoding: [0x05,0x00,0x19,0xd5,0xfa,0x04,0x02,0x00,0x01,0x5f,0x01,0x01]

v_lshrrev_b32_e64_dpp v5, v1, v2 row_xmask:0 row_mask:0x1 bank_mask:0x3 bound_ctrl:1 fi:0
// GFX12: v_lshrrev_b32_e64_dpp v5, v1, v2 row_xmask:0 row_mask:0x1 bank_mask:0x3 bound_ctrl:1 ; encoding: [0x05,0x00,0x19,0xd5,0xfa,0x04,0x02,0x00,0x01,0x60,0x09,0x13]

v_lshrrev_b32_e64_dpp v255, v255, v255 row_xmask:15 row_mask:0x3 bank_mask:0x0 bound_ctrl:0 fi:1
// GFX12: v_lshrrev_b32_e64_dpp v255, v255, v255 row_xmask:15 row_mask:0x3 bank_mask:0x0 fi:1 ; encoding: [0xff,0x00,0x19,0xd5,0xfa,0xfe,0x03,0x00,0xff,0x6f,0x05,0x30]

v_max_num_f16_e64_dpp v5, v1, v2 quad_perm:[3,2,1,0]
// GFX12: v_max_num_f16_e64_dpp v5, v1, v2 quad_perm:[3,2,1,0] row_mask:0xf bank_mask:0xf ; encoding: [0x05,0x00,0x31,0xd5,0xfa,0x04,0x02,0x00,0x01,0x1b,0x00,0xff]

v_max_num_f16_e64_dpp v5, v1, v2 quad_perm:[0,1,2,3]
// GFX12: v_max_num_f16_e64_dpp v5, v1, v2 quad_perm:[0,1,2,3] row_mask:0xf bank_mask:0xf ; encoding: [0x05,0x00,0x31,0xd5,0xfa,0x04,0x02,0x00,0x01,0xe4,0x00,0xff]

v_max_num_f16_e64_dpp v5, v1, v2 row_mirror
// GFX12: v_max_num_f16_e64_dpp v5, v1, v2 row_mirror row_mask:0xf bank_mask:0xf ; encoding: [0x05,0x00,0x31,0xd5,0xfa,0x04,0x02,0x00,0x01,0x40,0x01,0xff]

v_max_num_f16_e64_dpp v5, v1, v2 row_half_mirror
// GFX12: v_max_num_f16_e64_dpp v5, v1, v2 row_half_mirror row_mask:0xf bank_mask:0xf ; encoding: [0x05,0x00,0x31,0xd5,0xfa,0x04,0x02,0x00,0x01,0x41,0x01,0xff]

v_max_num_f16_e64_dpp v5, v1, v2 row_shl:1
// GFX12: v_max_num_f16_e64_dpp v5, v1, v2 row_shl:1 row_mask:0xf bank_mask:0xf ; encoding: [0x05,0x00,0x31,0xd5,0xfa,0x04,0x02,0x00,0x01,0x01,0x01,0xff]

v_max_num_f16_e64_dpp v5, v1, v2 row_shl:15
// GFX12: v_max_num_f16_e64_dpp v5, v1, v2 row_shl:15 row_mask:0xf bank_mask:0xf ; encoding: [0x05,0x00,0x31,0xd5,0xfa,0x04,0x02,0x00,0x01,0x0f,0x01,0xff]
	;; [unrolled: 3-line block ×3, first 2 shown]

v_max_num_f16_e64_dpp v5, v1, 2.0 row_shl:15
// GFX12: v_max_num_f16_e64_dpp v5, v1, 2.0 row_shl:15 row_mask:0xf bank_mask:0xf ; encoding: [0x05,0x00,0x31,0xd5,0xfa,0xe8,0x01,0x00,0x01,0x0f,0x01,0xff]

v_max_num_f16_e64_dpp v5, v1, v2 row_shr:1
// GFX12: v_max_num_f16_e64_dpp v5, v1, v2 row_shr:1 row_mask:0xf bank_mask:0xf ; encoding: [0x05,0x00,0x31,0xd5,0xfa,0x04,0x02,0x00,0x01,0x11,0x01,0xff]

v_max_num_f16_e64_dpp v5, v1, v2 row_shr:15
// GFX12: v_max_num_f16_e64_dpp v5, v1, v2 row_shr:15 row_mask:0xf bank_mask:0xf ; encoding: [0x05,0x00,0x31,0xd5,0xfa,0x04,0x02,0x00,0x01,0x1f,0x01,0xff]

v_max_num_f16_e64_dpp v5, v1, v2 row_ror:1
// GFX12: v_max_num_f16_e64_dpp v5, v1, v2 row_ror:1 row_mask:0xf bank_mask:0xf ; encoding: [0x05,0x00,0x31,0xd5,0xfa,0x04,0x02,0x00,0x01,0x21,0x01,0xff]

v_max_num_f16_e64_dpp v5, v1, v2 row_ror:15
// GFX12: v_max_num_f16_e64_dpp v5, v1, v2 row_ror:15 row_mask:0xf bank_mask:0xf ; encoding: [0x05,0x00,0x31,0xd5,0xfa,0x04,0x02,0x00,0x01,0x2f,0x01,0xff]

v_max_num_f16_e64_dpp v5, v1, v2 row_share:0 row_mask:0xf bank_mask:0xf
// GFX12: v_max_num_f16_e64_dpp v5, v1, v2 row_share:0 row_mask:0xf bank_mask:0xf ; encoding: [0x05,0x00,0x31,0xd5,0xfa,0x04,0x02,0x00,0x01,0x50,0x01,0xff]

v_max_num_f16_e64_dpp v5, |v1|, -v2 mul:2 row_share:15 row_mask:0x0 bank_mask:0x1
// GFX12: v_max_num_f16_e64_dpp v5, |v1|, -v2 mul:2 row_share:15 row_mask:0x0 bank_mask:0x1 ; encoding: [0x05,0x01,0x31,0xd5,0xfa,0x04,0x02,0x48,0x01,0x5f,0x01,0x01]

v_max_num_f16_e64_dpp v5, -v1, |v2| mul:4 row_xmask:0 row_mask:0x1 bank_mask:0x3 bound_ctrl:1 fi:0
// GFX12: v_max_num_f16_e64_dpp v5, -v1, |v2| mul:4 row_xmask:0 row_mask:0x1 bank_mask:0x3 bound_ctrl:1 ; encoding: [0x05,0x02,0x31,0xd5,0xfa,0x04,0x02,0x30,0x01,0x60,0x09,0x13]

v_max_num_f16_e64_dpp v255, -|v255|, -|v255| clamp div:2 row_xmask:15 row_mask:0x3 bank_mask:0x0 bound_ctrl:0 fi:1
// GFX12: v_max_num_f16_e64_dpp v255, -|v255|, -|v255| clamp div:2 row_xmask:15 row_mask:0x3 bank_mask:0x0 fi:1 ; encoding: [0xff,0x83,0x31,0xd5,0xfa,0xfe,0x03,0x78,0xff,0x6f,0x05,0x30]

v_max_num_f32_e64_dpp v5, v1, v2 quad_perm:[3,2,1,0]
// GFX12: v_max_num_f32_e64_dpp v5, v1, v2 quad_perm:[3,2,1,0] row_mask:0xf bank_mask:0xf ; encoding: [0x05,0x00,0x16,0xd5,0xfa,0x04,0x02,0x00,0x01,0x1b,0x00,0xff]

v_max_num_f32_e64_dpp v5, v1, v2 quad_perm:[0,1,2,3]
// GFX12: v_max_num_f32_e64_dpp v5, v1, v2 quad_perm:[0,1,2,3] row_mask:0xf bank_mask:0xf ; encoding: [0x05,0x00,0x16,0xd5,0xfa,0x04,0x02,0x00,0x01,0xe4,0x00,0xff]

v_max_num_f32_e64_dpp v5, v1, v2 row_mirror
// GFX12: v_max_num_f32_e64_dpp v5, v1, v2 row_mirror row_mask:0xf bank_mask:0xf ; encoding: [0x05,0x00,0x16,0xd5,0xfa,0x04,0x02,0x00,0x01,0x40,0x01,0xff]

v_max_num_f32_e64_dpp v5, v1, v2 row_half_mirror
// GFX12: v_max_num_f32_e64_dpp v5, v1, v2 row_half_mirror row_mask:0xf bank_mask:0xf ; encoding: [0x05,0x00,0x16,0xd5,0xfa,0x04,0x02,0x00,0x01,0x41,0x01,0xff]

v_max_num_f32_e64_dpp v5, v1, v2 row_shl:1
// GFX12: v_max_num_f32_e64_dpp v5, v1, v2 row_shl:1 row_mask:0xf bank_mask:0xf ; encoding: [0x05,0x00,0x16,0xd5,0xfa,0x04,0x02,0x00,0x01,0x01,0x01,0xff]

v_max_num_f32_e64_dpp v5, v1, v2 row_shl:15
// GFX12: v_max_num_f32_e64_dpp v5, v1, v2 row_shl:15 row_mask:0xf bank_mask:0xf ; encoding: [0x05,0x00,0x16,0xd5,0xfa,0x04,0x02,0x00,0x01,0x0f,0x01,0xff]

v_max_num_f32_e64_dpp v5, v1, s2 row_shl:15
// GFX12: v_max_num_f32_e64_dpp v5, v1, s2 row_shl:15 row_mask:0xf bank_mask:0xf ; encoding: [0x05,0x00,0x16,0xd5,0xfa,0x04,0x00,0x00,0x01,0x0f,0x01,0xff]

v_max_num_f32_e64_dpp v5, v1, 2.0 row_shl:15
// GFX12: v_max_num_f32_e64_dpp v5, v1, 2.0 row_shl:15 row_mask:0xf bank_mask:0xf ; encoding: [0x05,0x00,0x16,0xd5,0xfa,0xe8,0x01,0x00,0x01,0x0f,0x01,0xff]

v_max_num_f32_e64_dpp v5, v1, v2 row_shr:1
// GFX12: v_max_num_f32_e64_dpp v5, v1, v2 row_shr:1 row_mask:0xf bank_mask:0xf ; encoding: [0x05,0x00,0x16,0xd5,0xfa,0x04,0x02,0x00,0x01,0x11,0x01,0xff]

v_max_num_f32_e64_dpp v5, v1, v2 row_shr:15
// GFX12: v_max_num_f32_e64_dpp v5, v1, v2 row_shr:15 row_mask:0xf bank_mask:0xf ; encoding: [0x05,0x00,0x16,0xd5,0xfa,0x04,0x02,0x00,0x01,0x1f,0x01,0xff]

v_max_num_f32_e64_dpp v5, v1, v2 row_ror:1
// GFX12: v_max_num_f32_e64_dpp v5, v1, v2 row_ror:1 row_mask:0xf bank_mask:0xf ; encoding: [0x05,0x00,0x16,0xd5,0xfa,0x04,0x02,0x00,0x01,0x21,0x01,0xff]

v_max_num_f32_e64_dpp v5, v1, v2 row_ror:15
// GFX12: v_max_num_f32_e64_dpp v5, v1, v2 row_ror:15 row_mask:0xf bank_mask:0xf ; encoding: [0x05,0x00,0x16,0xd5,0xfa,0x04,0x02,0x00,0x01,0x2f,0x01,0xff]

v_max_num_f32_e64_dpp v5, v1, v2 row_share:0 row_mask:0xf bank_mask:0xf
// GFX12: v_max_num_f32_e64_dpp v5, v1, v2 row_share:0 row_mask:0xf bank_mask:0xf ; encoding: [0x05,0x00,0x16,0xd5,0xfa,0x04,0x02,0x00,0x01,0x50,0x01,0xff]

v_max_num_f32_e64_dpp v5, |v1|, -v2 mul:2 row_share:15 row_mask:0x0 bank_mask:0x1
// GFX12: v_max_num_f32_e64_dpp v5, |v1|, -v2 mul:2 row_share:15 row_mask:0x0 bank_mask:0x1 ; encoding: [0x05,0x01,0x16,0xd5,0xfa,0x04,0x02,0x48,0x01,0x5f,0x01,0x01]

v_max_num_f32_e64_dpp v5, -v1, |v2| mul:4 row_xmask:0 row_mask:0x1 bank_mask:0x3 bound_ctrl:1 fi:0
// GFX12: v_max_num_f32_e64_dpp v5, -v1, |v2| mul:4 row_xmask:0 row_mask:0x1 bank_mask:0x3 bound_ctrl:1 ; encoding: [0x05,0x02,0x16,0xd5,0xfa,0x04,0x02,0x30,0x01,0x60,0x09,0x13]

v_max_num_f32_e64_dpp v255, -|v255|, -|v255| clamp div:2 row_xmask:15 row_mask:0x3 bank_mask:0x0 bound_ctrl:0 fi:1
// GFX12: v_max_num_f32_e64_dpp v255, -|v255|, -|v255| clamp div:2 row_xmask:15 row_mask:0x3 bank_mask:0x0 fi:1 ; encoding: [0xff,0x83,0x16,0xd5,0xfa,0xfe,0x03,0x78,0xff,0x6f,0x05,0x30]

v_max_i32_e64_dpp v5, v1, v2 quad_perm:[3,2,1,0]
// GFX12: v_max_i32_e64_dpp v5, v1, v2 quad_perm:[3,2,1,0] row_mask:0xf bank_mask:0xf ; encoding: [0x05,0x00,0x12,0xd5,0xfa,0x04,0x02,0x00,0x01,0x1b,0x00,0xff]

v_max_i32_e64_dpp v5, v1, v2 quad_perm:[0,1,2,3]
// GFX12: v_max_i32_e64_dpp v5, v1, v2 quad_perm:[0,1,2,3] row_mask:0xf bank_mask:0xf ; encoding: [0x05,0x00,0x12,0xd5,0xfa,0x04,0x02,0x00,0x01,0xe4,0x00,0xff]

v_max_i32_e64_dpp v5, v1, v2 row_mirror
// GFX12: v_max_i32_e64_dpp v5, v1, v2 row_mirror row_mask:0xf bank_mask:0xf ; encoding: [0x05,0x00,0x12,0xd5,0xfa,0x04,0x02,0x00,0x01,0x40,0x01,0xff]

v_max_i32_e64_dpp v5, v1, v2 row_half_mirror
// GFX12: v_max_i32_e64_dpp v5, v1, v2 row_half_mirror row_mask:0xf bank_mask:0xf ; encoding: [0x05,0x00,0x12,0xd5,0xfa,0x04,0x02,0x00,0x01,0x41,0x01,0xff]

v_max_i32_e64_dpp v5, v1, v2 row_shl:1
// GFX12: v_max_i32_e64_dpp v5, v1, v2 row_shl:1 row_mask:0xf bank_mask:0xf ; encoding: [0x05,0x00,0x12,0xd5,0xfa,0x04,0x02,0x00,0x01,0x01,0x01,0xff]

v_max_i32_e64_dpp v5, v1, v2 row_shl:15
// GFX12: v_max_i32_e64_dpp v5, v1, v2 row_shl:15 row_mask:0xf bank_mask:0xf ; encoding: [0x05,0x00,0x12,0xd5,0xfa,0x04,0x02,0x00,0x01,0x0f,0x01,0xff]
	;; [unrolled: 3-line block ×4, first 2 shown]

v_max_i32_e64_dpp v5, v1, v2 row_shr:1
// GFX12: v_max_i32_e64_dpp v5, v1, v2 row_shr:1 row_mask:0xf bank_mask:0xf ; encoding: [0x05,0x00,0x12,0xd5,0xfa,0x04,0x02,0x00,0x01,0x11,0x01,0xff]

v_max_i32_e64_dpp v5, v1, v2 row_shr:15
// GFX12: v_max_i32_e64_dpp v5, v1, v2 row_shr:15 row_mask:0xf bank_mask:0xf ; encoding: [0x05,0x00,0x12,0xd5,0xfa,0x04,0x02,0x00,0x01,0x1f,0x01,0xff]

v_max_i32_e64_dpp v5, v1, v2 row_ror:1
// GFX12: v_max_i32_e64_dpp v5, v1, v2 row_ror:1 row_mask:0xf bank_mask:0xf ; encoding: [0x05,0x00,0x12,0xd5,0xfa,0x04,0x02,0x00,0x01,0x21,0x01,0xff]

v_max_i32_e64_dpp v5, v1, v2 row_ror:15
// GFX12: v_max_i32_e64_dpp v5, v1, v2 row_ror:15 row_mask:0xf bank_mask:0xf ; encoding: [0x05,0x00,0x12,0xd5,0xfa,0x04,0x02,0x00,0x01,0x2f,0x01,0xff]

v_max_i32_e64_dpp v5, v1, v2 row_share:0 row_mask:0xf bank_mask:0xf
// GFX12: v_max_i32_e64_dpp v5, v1, v2 row_share:0 row_mask:0xf bank_mask:0xf ; encoding: [0x05,0x00,0x12,0xd5,0xfa,0x04,0x02,0x00,0x01,0x50,0x01,0xff]

v_max_i32_e64_dpp v5, v1, v2 row_share:15 row_mask:0x0 bank_mask:0x1
// GFX12: v_max_i32_e64_dpp v5, v1, v2 row_share:15 row_mask:0x0 bank_mask:0x1 ; encoding: [0x05,0x00,0x12,0xd5,0xfa,0x04,0x02,0x00,0x01,0x5f,0x01,0x01]

v_max_i32_e64_dpp v5, v1, v2 row_xmask:0 row_mask:0x1 bank_mask:0x3 bound_ctrl:1 fi:0
// GFX12: v_max_i32_e64_dpp v5, v1, v2 row_xmask:0 row_mask:0x1 bank_mask:0x3 bound_ctrl:1 ; encoding: [0x05,0x00,0x12,0xd5,0xfa,0x04,0x02,0x00,0x01,0x60,0x09,0x13]

v_max_i32_e64_dpp v255, v255, v255 row_xmask:15 row_mask:0x3 bank_mask:0x0 bound_ctrl:0 fi:1
// GFX12: v_max_i32_e64_dpp v255, v255, v255 row_xmask:15 row_mask:0x3 bank_mask:0x0 fi:1 ; encoding: [0xff,0x00,0x12,0xd5,0xfa,0xfe,0x03,0x00,0xff,0x6f,0x05,0x30]

v_max_u32_e64_dpp v5, v1, v2 quad_perm:[3,2,1,0]
// GFX12: v_max_u32_e64_dpp v5, v1, v2 quad_perm:[3,2,1,0] row_mask:0xf bank_mask:0xf ; encoding: [0x05,0x00,0x14,0xd5,0xfa,0x04,0x02,0x00,0x01,0x1b,0x00,0xff]

v_max_u32_e64_dpp v5, v1, v2 quad_perm:[0,1,2,3]
// GFX12: v_max_u32_e64_dpp v5, v1, v2 quad_perm:[0,1,2,3] row_mask:0xf bank_mask:0xf ; encoding: [0x05,0x00,0x14,0xd5,0xfa,0x04,0x02,0x00,0x01,0xe4,0x00,0xff]

v_max_u32_e64_dpp v5, v1, v2 row_mirror
// GFX12: v_max_u32_e64_dpp v5, v1, v2 row_mirror row_mask:0xf bank_mask:0xf ; encoding: [0x05,0x00,0x14,0xd5,0xfa,0x04,0x02,0x00,0x01,0x40,0x01,0xff]

v_max_u32_e64_dpp v5, v1, v2 row_half_mirror
// GFX12: v_max_u32_e64_dpp v5, v1, v2 row_half_mirror row_mask:0xf bank_mask:0xf ; encoding: [0x05,0x00,0x14,0xd5,0xfa,0x04,0x02,0x00,0x01,0x41,0x01,0xff]

v_max_u32_e64_dpp v5, v1, v2 row_shl:1
// GFX12: v_max_u32_e64_dpp v5, v1, v2 row_shl:1 row_mask:0xf bank_mask:0xf ; encoding: [0x05,0x00,0x14,0xd5,0xfa,0x04,0x02,0x00,0x01,0x01,0x01,0xff]

v_max_u32_e64_dpp v5, v1, v2 row_shl:15
// GFX12: v_max_u32_e64_dpp v5, v1, v2 row_shl:15 row_mask:0xf bank_mask:0xf ; encoding: [0x05,0x00,0x14,0xd5,0xfa,0x04,0x02,0x00,0x01,0x0f,0x01,0xff]
	;; [unrolled: 3-line block ×4, first 2 shown]

v_max_u32_e64_dpp v5, v1, v2 row_shr:1
// GFX12: v_max_u32_e64_dpp v5, v1, v2 row_shr:1 row_mask:0xf bank_mask:0xf ; encoding: [0x05,0x00,0x14,0xd5,0xfa,0x04,0x02,0x00,0x01,0x11,0x01,0xff]

v_max_u32_e64_dpp v5, v1, v2 row_shr:15
// GFX12: v_max_u32_e64_dpp v5, v1, v2 row_shr:15 row_mask:0xf bank_mask:0xf ; encoding: [0x05,0x00,0x14,0xd5,0xfa,0x04,0x02,0x00,0x01,0x1f,0x01,0xff]

v_max_u32_e64_dpp v5, v1, v2 row_ror:1
// GFX12: v_max_u32_e64_dpp v5, v1, v2 row_ror:1 row_mask:0xf bank_mask:0xf ; encoding: [0x05,0x00,0x14,0xd5,0xfa,0x04,0x02,0x00,0x01,0x21,0x01,0xff]

v_max_u32_e64_dpp v5, v1, v2 row_ror:15
// GFX12: v_max_u32_e64_dpp v5, v1, v2 row_ror:15 row_mask:0xf bank_mask:0xf ; encoding: [0x05,0x00,0x14,0xd5,0xfa,0x04,0x02,0x00,0x01,0x2f,0x01,0xff]

v_max_u32_e64_dpp v5, v1, v2 row_share:0 row_mask:0xf bank_mask:0xf
// GFX12: v_max_u32_e64_dpp v5, v1, v2 row_share:0 row_mask:0xf bank_mask:0xf ; encoding: [0x05,0x00,0x14,0xd5,0xfa,0x04,0x02,0x00,0x01,0x50,0x01,0xff]

v_max_u32_e64_dpp v5, v1, v2 row_share:15 row_mask:0x0 bank_mask:0x1
// GFX12: v_max_u32_e64_dpp v5, v1, v2 row_share:15 row_mask:0x0 bank_mask:0x1 ; encoding: [0x05,0x00,0x14,0xd5,0xfa,0x04,0x02,0x00,0x01,0x5f,0x01,0x01]

v_max_u32_e64_dpp v5, v1, v2 row_xmask:0 row_mask:0x1 bank_mask:0x3 bound_ctrl:1 fi:0
// GFX12: v_max_u32_e64_dpp v5, v1, v2 row_xmask:0 row_mask:0x1 bank_mask:0x3 bound_ctrl:1 ; encoding: [0x05,0x00,0x14,0xd5,0xfa,0x04,0x02,0x00,0x01,0x60,0x09,0x13]

v_max_u32_e64_dpp v255, v255, v255 row_xmask:15 row_mask:0x3 bank_mask:0x0 bound_ctrl:0 fi:1
// GFX12: v_max_u32_e64_dpp v255, v255, v255 row_xmask:15 row_mask:0x3 bank_mask:0x0 fi:1 ; encoding: [0xff,0x00,0x14,0xd5,0xfa,0xfe,0x03,0x00,0xff,0x6f,0x05,0x30]

v_min_num_f16_e64_dpp v5, v1, v2 quad_perm:[3,2,1,0]
// GFX12: v_min_num_f16_e64_dpp v5, v1, v2 quad_perm:[3,2,1,0] row_mask:0xf bank_mask:0xf ; encoding: [0x05,0x00,0x30,0xd5,0xfa,0x04,0x02,0x00,0x01,0x1b,0x00,0xff]

v_min_num_f16_e64_dpp v5, v1, v2 quad_perm:[0,1,2,3]
// GFX12: v_min_num_f16_e64_dpp v5, v1, v2 quad_perm:[0,1,2,3] row_mask:0xf bank_mask:0xf ; encoding: [0x05,0x00,0x30,0xd5,0xfa,0x04,0x02,0x00,0x01,0xe4,0x00,0xff]

v_min_num_f16_e64_dpp v5, v1, v2 row_mirror
// GFX12: v_min_num_f16_e64_dpp v5, v1, v2 row_mirror row_mask:0xf bank_mask:0xf ; encoding: [0x05,0x00,0x30,0xd5,0xfa,0x04,0x02,0x00,0x01,0x40,0x01,0xff]

v_min_num_f16_e64_dpp v5, v1, v2 row_half_mirror
// GFX12: v_min_num_f16_e64_dpp v5, v1, v2 row_half_mirror row_mask:0xf bank_mask:0xf ; encoding: [0x05,0x00,0x30,0xd5,0xfa,0x04,0x02,0x00,0x01,0x41,0x01,0xff]

v_min_num_f16_e64_dpp v5, v1, v2 row_shl:1
// GFX12: v_min_num_f16_e64_dpp v5, v1, v2 row_shl:1 row_mask:0xf bank_mask:0xf ; encoding: [0x05,0x00,0x30,0xd5,0xfa,0x04,0x02,0x00,0x01,0x01,0x01,0xff]

v_min_num_f16_e64_dpp v5, v1, v2 row_shl:15
// GFX12: v_min_num_f16_e64_dpp v5, v1, v2 row_shl:15 row_mask:0xf bank_mask:0xf ; encoding: [0x05,0x00,0x30,0xd5,0xfa,0x04,0x02,0x00,0x01,0x0f,0x01,0xff]
	;; [unrolled: 3-line block ×3, first 2 shown]

v_min_num_f16_e64_dpp v5, v1, 2.0 row_shl:15
// GFX12: v_min_num_f16_e64_dpp v5, v1, 2.0 row_shl:15 row_mask:0xf bank_mask:0xf ; encoding: [0x05,0x00,0x30,0xd5,0xfa,0xe8,0x01,0x00,0x01,0x0f,0x01,0xff]

v_min_num_f16_e64_dpp v5, v1, v2 row_shr:1
// GFX12: v_min_num_f16_e64_dpp v5, v1, v2 row_shr:1 row_mask:0xf bank_mask:0xf ; encoding: [0x05,0x00,0x30,0xd5,0xfa,0x04,0x02,0x00,0x01,0x11,0x01,0xff]

v_min_num_f16_e64_dpp v5, v1, v2 row_shr:15
// GFX12: v_min_num_f16_e64_dpp v5, v1, v2 row_shr:15 row_mask:0xf bank_mask:0xf ; encoding: [0x05,0x00,0x30,0xd5,0xfa,0x04,0x02,0x00,0x01,0x1f,0x01,0xff]

v_min_num_f16_e64_dpp v5, v1, v2 row_ror:1
// GFX12: v_min_num_f16_e64_dpp v5, v1, v2 row_ror:1 row_mask:0xf bank_mask:0xf ; encoding: [0x05,0x00,0x30,0xd5,0xfa,0x04,0x02,0x00,0x01,0x21,0x01,0xff]

v_min_num_f16_e64_dpp v5, v1, v2 row_ror:15
// GFX12: v_min_num_f16_e64_dpp v5, v1, v2 row_ror:15 row_mask:0xf bank_mask:0xf ; encoding: [0x05,0x00,0x30,0xd5,0xfa,0x04,0x02,0x00,0x01,0x2f,0x01,0xff]

v_min_num_f16_e64_dpp v5, v1, v2 row_share:0 row_mask:0xf bank_mask:0xf
// GFX12: v_min_num_f16_e64_dpp v5, v1, v2 row_share:0 row_mask:0xf bank_mask:0xf ; encoding: [0x05,0x00,0x30,0xd5,0xfa,0x04,0x02,0x00,0x01,0x50,0x01,0xff]

v_min_num_f16_e64_dpp v5, |v1|, -v2 mul:2 row_share:15 row_mask:0x0 bank_mask:0x1
// GFX12: v_min_num_f16_e64_dpp v5, |v1|, -v2 mul:2 row_share:15 row_mask:0x0 bank_mask:0x1 ; encoding: [0x05,0x01,0x30,0xd5,0xfa,0x04,0x02,0x48,0x01,0x5f,0x01,0x01]

v_min_num_f16_e64_dpp v5, -v1, |v2| mul:4 row_xmask:0 row_mask:0x1 bank_mask:0x3 bound_ctrl:1 fi:0
// GFX12: v_min_num_f16_e64_dpp v5, -v1, |v2| mul:4 row_xmask:0 row_mask:0x1 bank_mask:0x3 bound_ctrl:1 ; encoding: [0x05,0x02,0x30,0xd5,0xfa,0x04,0x02,0x30,0x01,0x60,0x09,0x13]

v_min_num_f16_e64_dpp v255, -|v255|, -|v255| clamp div:2 row_xmask:15 row_mask:0x3 bank_mask:0x0 bound_ctrl:0 fi:1
// GFX12: v_min_num_f16_e64_dpp v255, -|v255|, -|v255| clamp div:2 row_xmask:15 row_mask:0x3 bank_mask:0x0 fi:1 ; encoding: [0xff,0x83,0x30,0xd5,0xfa,0xfe,0x03,0x78,0xff,0x6f,0x05,0x30]

v_min_num_f32_e64_dpp v5, v1, v2 quad_perm:[3,2,1,0]
// GFX12: v_min_num_f32_e64_dpp v5, v1, v2 quad_perm:[3,2,1,0] row_mask:0xf bank_mask:0xf ; encoding: [0x05,0x00,0x15,0xd5,0xfa,0x04,0x02,0x00,0x01,0x1b,0x00,0xff]

v_min_num_f32_e64_dpp v5, v1, v2 quad_perm:[0,1,2,3]
// GFX12: v_min_num_f32_e64_dpp v5, v1, v2 quad_perm:[0,1,2,3] row_mask:0xf bank_mask:0xf ; encoding: [0x05,0x00,0x15,0xd5,0xfa,0x04,0x02,0x00,0x01,0xe4,0x00,0xff]

v_min_num_f32_e64_dpp v5, v1, v2 row_mirror
// GFX12: v_min_num_f32_e64_dpp v5, v1, v2 row_mirror row_mask:0xf bank_mask:0xf ; encoding: [0x05,0x00,0x15,0xd5,0xfa,0x04,0x02,0x00,0x01,0x40,0x01,0xff]

v_min_num_f32_e64_dpp v5, v1, v2 row_half_mirror
// GFX12: v_min_num_f32_e64_dpp v5, v1, v2 row_half_mirror row_mask:0xf bank_mask:0xf ; encoding: [0x05,0x00,0x15,0xd5,0xfa,0x04,0x02,0x00,0x01,0x41,0x01,0xff]

v_min_num_f32_e64_dpp v5, v1, v2 row_shl:1
// GFX12: v_min_num_f32_e64_dpp v5, v1, v2 row_shl:1 row_mask:0xf bank_mask:0xf ; encoding: [0x05,0x00,0x15,0xd5,0xfa,0x04,0x02,0x00,0x01,0x01,0x01,0xff]

v_min_num_f32_e64_dpp v5, v1, v2 row_shl:15
// GFX12: v_min_num_f32_e64_dpp v5, v1, v2 row_shl:15 row_mask:0xf bank_mask:0xf ; encoding: [0x05,0x00,0x15,0xd5,0xfa,0x04,0x02,0x00,0x01,0x0f,0x01,0xff]
	;; [unrolled: 3-line block ×3, first 2 shown]

v_min_num_f32_e64_dpp v5, v1, 2.0 row_shl:15
// GFX12: v_min_num_f32_e64_dpp v5, v1, 2.0 row_shl:15 row_mask:0xf bank_mask:0xf ; encoding: [0x05,0x00,0x15,0xd5,0xfa,0xe8,0x01,0x00,0x01,0x0f,0x01,0xff]

v_min_num_f32_e64_dpp v5, v1, v2 row_shr:1
// GFX12: v_min_num_f32_e64_dpp v5, v1, v2 row_shr:1 row_mask:0xf bank_mask:0xf ; encoding: [0x05,0x00,0x15,0xd5,0xfa,0x04,0x02,0x00,0x01,0x11,0x01,0xff]

v_min_num_f32_e64_dpp v5, v1, v2 row_shr:15
// GFX12: v_min_num_f32_e64_dpp v5, v1, v2 row_shr:15 row_mask:0xf bank_mask:0xf ; encoding: [0x05,0x00,0x15,0xd5,0xfa,0x04,0x02,0x00,0x01,0x1f,0x01,0xff]

v_min_num_f32_e64_dpp v5, v1, v2 row_ror:1
// GFX12: v_min_num_f32_e64_dpp v5, v1, v2 row_ror:1 row_mask:0xf bank_mask:0xf ; encoding: [0x05,0x00,0x15,0xd5,0xfa,0x04,0x02,0x00,0x01,0x21,0x01,0xff]

v_min_num_f32_e64_dpp v5, v1, v2 row_ror:15
// GFX12: v_min_num_f32_e64_dpp v5, v1, v2 row_ror:15 row_mask:0xf bank_mask:0xf ; encoding: [0x05,0x00,0x15,0xd5,0xfa,0x04,0x02,0x00,0x01,0x2f,0x01,0xff]

v_min_num_f32_e64_dpp v5, v1, v2 row_share:0 row_mask:0xf bank_mask:0xf
// GFX12: v_min_num_f32_e64_dpp v5, v1, v2 row_share:0 row_mask:0xf bank_mask:0xf ; encoding: [0x05,0x00,0x15,0xd5,0xfa,0x04,0x02,0x00,0x01,0x50,0x01,0xff]

v_min_num_f32_e64_dpp v5, |v1|, -v2 mul:2 row_share:15 row_mask:0x0 bank_mask:0x1
// GFX12: v_min_num_f32_e64_dpp v5, |v1|, -v2 mul:2 row_share:15 row_mask:0x0 bank_mask:0x1 ; encoding: [0x05,0x01,0x15,0xd5,0xfa,0x04,0x02,0x48,0x01,0x5f,0x01,0x01]

v_min_num_f32_e64_dpp v5, -v1, |v2| mul:4 row_xmask:0 row_mask:0x1 bank_mask:0x3 bound_ctrl:1 fi:0
// GFX12: v_min_num_f32_e64_dpp v5, -v1, |v2| mul:4 row_xmask:0 row_mask:0x1 bank_mask:0x3 bound_ctrl:1 ; encoding: [0x05,0x02,0x15,0xd5,0xfa,0x04,0x02,0x30,0x01,0x60,0x09,0x13]

v_min_num_f32_e64_dpp v255, -|v255|, -|v255| clamp div:2 row_xmask:15 row_mask:0x3 bank_mask:0x0 bound_ctrl:0 fi:1
// GFX12: v_min_num_f32_e64_dpp v255, -|v255|, -|v255| clamp div:2 row_xmask:15 row_mask:0x3 bank_mask:0x0 fi:1 ; encoding: [0xff,0x83,0x15,0xd5,0xfa,0xfe,0x03,0x78,0xff,0x6f,0x05,0x30]

v_min_i32_e64_dpp v5, v1, v2 quad_perm:[3,2,1,0]
// GFX12: v_min_i32_e64_dpp v5, v1, v2 quad_perm:[3,2,1,0] row_mask:0xf bank_mask:0xf ; encoding: [0x05,0x00,0x11,0xd5,0xfa,0x04,0x02,0x00,0x01,0x1b,0x00,0xff]

v_min_i32_e64_dpp v5, v1, v2 quad_perm:[0,1,2,3]
// GFX12: v_min_i32_e64_dpp v5, v1, v2 quad_perm:[0,1,2,3] row_mask:0xf bank_mask:0xf ; encoding: [0x05,0x00,0x11,0xd5,0xfa,0x04,0x02,0x00,0x01,0xe4,0x00,0xff]

v_min_i32_e64_dpp v5, v1, v2 row_mirror
// GFX12: v_min_i32_e64_dpp v5, v1, v2 row_mirror row_mask:0xf bank_mask:0xf ; encoding: [0x05,0x00,0x11,0xd5,0xfa,0x04,0x02,0x00,0x01,0x40,0x01,0xff]

v_min_i32_e64_dpp v5, v1, v2 row_half_mirror
// GFX12: v_min_i32_e64_dpp v5, v1, v2 row_half_mirror row_mask:0xf bank_mask:0xf ; encoding: [0x05,0x00,0x11,0xd5,0xfa,0x04,0x02,0x00,0x01,0x41,0x01,0xff]

v_min_i32_e64_dpp v5, v1, v2 row_shl:1
// GFX12: v_min_i32_e64_dpp v5, v1, v2 row_shl:1 row_mask:0xf bank_mask:0xf ; encoding: [0x05,0x00,0x11,0xd5,0xfa,0x04,0x02,0x00,0x01,0x01,0x01,0xff]

v_min_i32_e64_dpp v5, v1, v2 row_shl:15
// GFX12: v_min_i32_e64_dpp v5, v1, v2 row_shl:15 row_mask:0xf bank_mask:0xf ; encoding: [0x05,0x00,0x11,0xd5,0xfa,0x04,0x02,0x00,0x01,0x0f,0x01,0xff]
	;; [unrolled: 3-line block ×4, first 2 shown]

v_min_i32_e64_dpp v5, v1, v2 row_shr:1
// GFX12: v_min_i32_e64_dpp v5, v1, v2 row_shr:1 row_mask:0xf bank_mask:0xf ; encoding: [0x05,0x00,0x11,0xd5,0xfa,0x04,0x02,0x00,0x01,0x11,0x01,0xff]

v_min_i32_e64_dpp v5, v1, v2 row_shr:15
// GFX12: v_min_i32_e64_dpp v5, v1, v2 row_shr:15 row_mask:0xf bank_mask:0xf ; encoding: [0x05,0x00,0x11,0xd5,0xfa,0x04,0x02,0x00,0x01,0x1f,0x01,0xff]

v_min_i32_e64_dpp v5, v1, v2 row_ror:1
// GFX12: v_min_i32_e64_dpp v5, v1, v2 row_ror:1 row_mask:0xf bank_mask:0xf ; encoding: [0x05,0x00,0x11,0xd5,0xfa,0x04,0x02,0x00,0x01,0x21,0x01,0xff]

v_min_i32_e64_dpp v5, v1, v2 row_ror:15
// GFX12: v_min_i32_e64_dpp v5, v1, v2 row_ror:15 row_mask:0xf bank_mask:0xf ; encoding: [0x05,0x00,0x11,0xd5,0xfa,0x04,0x02,0x00,0x01,0x2f,0x01,0xff]

v_min_i32_e64_dpp v5, v1, v2 row_share:0 row_mask:0xf bank_mask:0xf
// GFX12: v_min_i32_e64_dpp v5, v1, v2 row_share:0 row_mask:0xf bank_mask:0xf ; encoding: [0x05,0x00,0x11,0xd5,0xfa,0x04,0x02,0x00,0x01,0x50,0x01,0xff]

v_min_i32_e64_dpp v5, v1, v2 row_share:15 row_mask:0x0 bank_mask:0x1
// GFX12: v_min_i32_e64_dpp v5, v1, v2 row_share:15 row_mask:0x0 bank_mask:0x1 ; encoding: [0x05,0x00,0x11,0xd5,0xfa,0x04,0x02,0x00,0x01,0x5f,0x01,0x01]

v_min_i32_e64_dpp v5, v1, v2 row_xmask:0 row_mask:0x1 bank_mask:0x3 bound_ctrl:1 fi:0
// GFX12: v_min_i32_e64_dpp v5, v1, v2 row_xmask:0 row_mask:0x1 bank_mask:0x3 bound_ctrl:1 ; encoding: [0x05,0x00,0x11,0xd5,0xfa,0x04,0x02,0x00,0x01,0x60,0x09,0x13]

v_min_i32_e64_dpp v255, v255, v255 row_xmask:15 row_mask:0x3 bank_mask:0x0 bound_ctrl:0 fi:1
// GFX12: v_min_i32_e64_dpp v255, v255, v255 row_xmask:15 row_mask:0x3 bank_mask:0x0 fi:1 ; encoding: [0xff,0x00,0x11,0xd5,0xfa,0xfe,0x03,0x00,0xff,0x6f,0x05,0x30]

v_min_u32_e64_dpp v5, v1, v2 quad_perm:[3,2,1,0]
// GFX12: v_min_u32_e64_dpp v5, v1, v2 quad_perm:[3,2,1,0] row_mask:0xf bank_mask:0xf ; encoding: [0x05,0x00,0x13,0xd5,0xfa,0x04,0x02,0x00,0x01,0x1b,0x00,0xff]

v_min_u32_e64_dpp v5, v1, v2 quad_perm:[0,1,2,3]
// GFX12: v_min_u32_e64_dpp v5, v1, v2 quad_perm:[0,1,2,3] row_mask:0xf bank_mask:0xf ; encoding: [0x05,0x00,0x13,0xd5,0xfa,0x04,0x02,0x00,0x01,0xe4,0x00,0xff]

v_min_u32_e64_dpp v5, v1, v2 row_mirror
// GFX12: v_min_u32_e64_dpp v5, v1, v2 row_mirror row_mask:0xf bank_mask:0xf ; encoding: [0x05,0x00,0x13,0xd5,0xfa,0x04,0x02,0x00,0x01,0x40,0x01,0xff]

v_min_u32_e64_dpp v5, v1, v2 row_half_mirror
// GFX12: v_min_u32_e64_dpp v5, v1, v2 row_half_mirror row_mask:0xf bank_mask:0xf ; encoding: [0x05,0x00,0x13,0xd5,0xfa,0x04,0x02,0x00,0x01,0x41,0x01,0xff]

v_min_u32_e64_dpp v5, v1, v2 row_shl:1
// GFX12: v_min_u32_e64_dpp v5, v1, v2 row_shl:1 row_mask:0xf bank_mask:0xf ; encoding: [0x05,0x00,0x13,0xd5,0xfa,0x04,0x02,0x00,0x01,0x01,0x01,0xff]

v_min_u32_e64_dpp v5, v1, v2 row_shl:15
// GFX12: v_min_u32_e64_dpp v5, v1, v2 row_shl:15 row_mask:0xf bank_mask:0xf ; encoding: [0x05,0x00,0x13,0xd5,0xfa,0x04,0x02,0x00,0x01,0x0f,0x01,0xff]
	;; [unrolled: 3-line block ×4, first 2 shown]

v_min_u32_e64_dpp v5, v1, v2 row_shr:1
// GFX12: v_min_u32_e64_dpp v5, v1, v2 row_shr:1 row_mask:0xf bank_mask:0xf ; encoding: [0x05,0x00,0x13,0xd5,0xfa,0x04,0x02,0x00,0x01,0x11,0x01,0xff]

v_min_u32_e64_dpp v5, v1, v2 row_shr:15
// GFX12: v_min_u32_e64_dpp v5, v1, v2 row_shr:15 row_mask:0xf bank_mask:0xf ; encoding: [0x05,0x00,0x13,0xd5,0xfa,0x04,0x02,0x00,0x01,0x1f,0x01,0xff]

v_min_u32_e64_dpp v5, v1, v2 row_ror:1
// GFX12: v_min_u32_e64_dpp v5, v1, v2 row_ror:1 row_mask:0xf bank_mask:0xf ; encoding: [0x05,0x00,0x13,0xd5,0xfa,0x04,0x02,0x00,0x01,0x21,0x01,0xff]

v_min_u32_e64_dpp v5, v1, v2 row_ror:15
// GFX12: v_min_u32_e64_dpp v5, v1, v2 row_ror:15 row_mask:0xf bank_mask:0xf ; encoding: [0x05,0x00,0x13,0xd5,0xfa,0x04,0x02,0x00,0x01,0x2f,0x01,0xff]

v_min_u32_e64_dpp v5, v1, v2 row_share:0 row_mask:0xf bank_mask:0xf
// GFX12: v_min_u32_e64_dpp v5, v1, v2 row_share:0 row_mask:0xf bank_mask:0xf ; encoding: [0x05,0x00,0x13,0xd5,0xfa,0x04,0x02,0x00,0x01,0x50,0x01,0xff]

v_min_u32_e64_dpp v5, v1, v2 row_share:15 row_mask:0x0 bank_mask:0x1
// GFX12: v_min_u32_e64_dpp v5, v1, v2 row_share:15 row_mask:0x0 bank_mask:0x1 ; encoding: [0x05,0x00,0x13,0xd5,0xfa,0x04,0x02,0x00,0x01,0x5f,0x01,0x01]

v_min_u32_e64_dpp v5, v1, v2 row_xmask:0 row_mask:0x1 bank_mask:0x3 bound_ctrl:1 fi:0
// GFX12: v_min_u32_e64_dpp v5, v1, v2 row_xmask:0 row_mask:0x1 bank_mask:0x3 bound_ctrl:1 ; encoding: [0x05,0x00,0x13,0xd5,0xfa,0x04,0x02,0x00,0x01,0x60,0x09,0x13]

v_min_u32_e64_dpp v255, v255, v255 row_xmask:15 row_mask:0x3 bank_mask:0x0 bound_ctrl:0 fi:1
// GFX12: v_min_u32_e64_dpp v255, v255, v255 row_xmask:15 row_mask:0x3 bank_mask:0x0 fi:1 ; encoding: [0xff,0x00,0x13,0xd5,0xfa,0xfe,0x03,0x00,0xff,0x6f,0x05,0x30]

v_mul_dx9_zero_f32_e64_dpp v5, v1, v2 quad_perm:[3,2,1,0]
// GFX12: v_mul_dx9_zero_f32_e64_dpp v5, v1, v2 quad_perm:[3,2,1,0] row_mask:0xf bank_mask:0xf ; encoding: [0x05,0x00,0x07,0xd5,0xfa,0x04,0x02,0x00,0x01,0x1b,0x00,0xff]

v_mul_dx9_zero_f32_e64_dpp v5, v1, v2 quad_perm:[0,1,2,3]
// GFX12: v_mul_dx9_zero_f32_e64_dpp v5, v1, v2 quad_perm:[0,1,2,3] row_mask:0xf bank_mask:0xf ; encoding: [0x05,0x00,0x07,0xd5,0xfa,0x04,0x02,0x00,0x01,0xe4,0x00,0xff]

v_mul_dx9_zero_f32_e64_dpp v5, v1, v2 row_mirror
// GFX12: v_mul_dx9_zero_f32_e64_dpp v5, v1, v2 row_mirror row_mask:0xf bank_mask:0xf ; encoding: [0x05,0x00,0x07,0xd5,0xfa,0x04,0x02,0x00,0x01,0x40,0x01,0xff]

v_mul_dx9_zero_f32_e64_dpp v5, v1, v2 row_half_mirror
// GFX12: v_mul_dx9_zero_f32_e64_dpp v5, v1, v2 row_half_mirror row_mask:0xf bank_mask:0xf ; encoding: [0x05,0x00,0x07,0xd5,0xfa,0x04,0x02,0x00,0x01,0x41,0x01,0xff]

v_mul_dx9_zero_f32_e64_dpp v5, v1, v2 row_shl:1
// GFX12: v_mul_dx9_zero_f32_e64_dpp v5, v1, v2 row_shl:1 row_mask:0xf bank_mask:0xf ; encoding: [0x05,0x00,0x07,0xd5,0xfa,0x04,0x02,0x00,0x01,0x01,0x01,0xff]

v_mul_dx9_zero_f32_e64_dpp v5, v1, v2 row_shl:15
// GFX12: v_mul_dx9_zero_f32_e64_dpp v5, v1, v2 row_shl:15 row_mask:0xf bank_mask:0xf ; encoding: [0x05,0x00,0x07,0xd5,0xfa,0x04,0x02,0x00,0x01,0x0f,0x01,0xff]
	;; [unrolled: 3-line block ×3, first 2 shown]

v_mul_dx9_zero_f32_e64_dpp v5, v1, 2.0 row_shl:15
// GFX12: v_mul_dx9_zero_f32_e64_dpp v5, v1, 2.0 row_shl:15 row_mask:0xf bank_mask:0xf ; encoding: [0x05,0x00,0x07,0xd5,0xfa,0xe8,0x01,0x00,0x01,0x0f,0x01,0xff]

v_mul_dx9_zero_f32_e64_dpp v5, v1, v2 row_shr:1
// GFX12: v_mul_dx9_zero_f32_e64_dpp v5, v1, v2 row_shr:1 row_mask:0xf bank_mask:0xf ; encoding: [0x05,0x00,0x07,0xd5,0xfa,0x04,0x02,0x00,0x01,0x11,0x01,0xff]

v_mul_dx9_zero_f32_e64_dpp v5, v1, v2 row_shr:15
// GFX12: v_mul_dx9_zero_f32_e64_dpp v5, v1, v2 row_shr:15 row_mask:0xf bank_mask:0xf ; encoding: [0x05,0x00,0x07,0xd5,0xfa,0x04,0x02,0x00,0x01,0x1f,0x01,0xff]

v_mul_dx9_zero_f32_e64_dpp v5, v1, v2 row_ror:1
// GFX12: v_mul_dx9_zero_f32_e64_dpp v5, v1, v2 row_ror:1 row_mask:0xf bank_mask:0xf ; encoding: [0x05,0x00,0x07,0xd5,0xfa,0x04,0x02,0x00,0x01,0x21,0x01,0xff]

v_mul_dx9_zero_f32_e64_dpp v5, v1, v2 row_ror:15
// GFX12: v_mul_dx9_zero_f32_e64_dpp v5, v1, v2 row_ror:15 row_mask:0xf bank_mask:0xf ; encoding: [0x05,0x00,0x07,0xd5,0xfa,0x04,0x02,0x00,0x01,0x2f,0x01,0xff]

v_mul_dx9_zero_f32_e64_dpp v5, v1, v2 row_share:0 row_mask:0xf bank_mask:0xf
// GFX12: v_mul_dx9_zero_f32_e64_dpp v5, v1, v2 row_share:0 row_mask:0xf bank_mask:0xf ; encoding: [0x05,0x00,0x07,0xd5,0xfa,0x04,0x02,0x00,0x01,0x50,0x01,0xff]

v_mul_dx9_zero_f32_e64_dpp v5, |v1|, -v2 mul:2 row_share:15 row_mask:0x0 bank_mask:0x1
// GFX12: v_mul_dx9_zero_f32_e64_dpp v5, |v1|, -v2 mul:2 row_share:15 row_mask:0x0 bank_mask:0x1 ; encoding: [0x05,0x01,0x07,0xd5,0xfa,0x04,0x02,0x48,0x01,0x5f,0x01,0x01]

v_mul_dx9_zero_f32_e64_dpp v5, -v1, |v2| mul:4 row_xmask:0 row_mask:0x1 bank_mask:0x3 bound_ctrl:1 fi:0
// GFX12: v_mul_dx9_zero_f32_e64_dpp v5, -v1, |v2| mul:4 row_xmask:0 row_mask:0x1 bank_mask:0x3 bound_ctrl:1 ; encoding: [0x05,0x02,0x07,0xd5,0xfa,0x04,0x02,0x30,0x01,0x60,0x09,0x13]

v_mul_dx9_zero_f32_e64_dpp v255, -|v255|, -|v255| clamp div:2 row_xmask:15 row_mask:0x3 bank_mask:0x0 bound_ctrl:0 fi:1
// GFX12: v_mul_dx9_zero_f32_e64_dpp v255, -|v255|, -|v255| clamp div:2 row_xmask:15 row_mask:0x3 bank_mask:0x0 fi:1 ; encoding: [0xff,0x83,0x07,0xd5,0xfa,0xfe,0x03,0x78,0xff,0x6f,0x05,0x30]

v_mul_f16_e64_dpp v5, v1, v2 quad_perm:[3,2,1,0]
// GFX12: v_mul_f16_e64_dpp v5, v1, v2 quad_perm:[3,2,1,0] row_mask:0xf bank_mask:0xf ; encoding: [0x05,0x00,0x35,0xd5,0xfa,0x04,0x02,0x00,0x01,0x1b,0x00,0xff]

v_mul_f16_e64_dpp v5, v1, v2 quad_perm:[0,1,2,3]
// GFX12: v_mul_f16_e64_dpp v5, v1, v2 quad_perm:[0,1,2,3] row_mask:0xf bank_mask:0xf ; encoding: [0x05,0x00,0x35,0xd5,0xfa,0x04,0x02,0x00,0x01,0xe4,0x00,0xff]

v_mul_f16_e64_dpp v5, v1, v2 row_mirror
// GFX12: v_mul_f16_e64_dpp v5, v1, v2 row_mirror row_mask:0xf bank_mask:0xf ; encoding: [0x05,0x00,0x35,0xd5,0xfa,0x04,0x02,0x00,0x01,0x40,0x01,0xff]

v_mul_f16_e64_dpp v5, v1, v2 row_half_mirror
// GFX12: v_mul_f16_e64_dpp v5, v1, v2 row_half_mirror row_mask:0xf bank_mask:0xf ; encoding: [0x05,0x00,0x35,0xd5,0xfa,0x04,0x02,0x00,0x01,0x41,0x01,0xff]

v_mul_f16_e64_dpp v5, v1, v2 row_shl:1
// GFX12: v_mul_f16_e64_dpp v5, v1, v2 row_shl:1 row_mask:0xf bank_mask:0xf ; encoding: [0x05,0x00,0x35,0xd5,0xfa,0x04,0x02,0x00,0x01,0x01,0x01,0xff]

v_mul_f16_e64_dpp v5, v1, v2 row_shl:15
// GFX12: v_mul_f16_e64_dpp v5, v1, v2 row_shl:15 row_mask:0xf bank_mask:0xf ; encoding: [0x05,0x00,0x35,0xd5,0xfa,0x04,0x02,0x00,0x01,0x0f,0x01,0xff]
	;; [unrolled: 3-line block ×3, first 2 shown]

v_mul_f16_e64_dpp v5, v1, 2.0 row_shl:15
// GFX12: v_mul_f16_e64_dpp v5, v1, 2.0 row_shl:15 row_mask:0xf bank_mask:0xf ; encoding: [0x05,0x00,0x35,0xd5,0xfa,0xe8,0x01,0x00,0x01,0x0f,0x01,0xff]

v_mul_f16_e64_dpp v5, v1, v2 row_shr:1
// GFX12: v_mul_f16_e64_dpp v5, v1, v2 row_shr:1 row_mask:0xf bank_mask:0xf ; encoding: [0x05,0x00,0x35,0xd5,0xfa,0x04,0x02,0x00,0x01,0x11,0x01,0xff]

v_mul_f16_e64_dpp v5, v1, v2 row_shr:15
// GFX12: v_mul_f16_e64_dpp v5, v1, v2 row_shr:15 row_mask:0xf bank_mask:0xf ; encoding: [0x05,0x00,0x35,0xd5,0xfa,0x04,0x02,0x00,0x01,0x1f,0x01,0xff]

v_mul_f16_e64_dpp v5, v1, v2 row_ror:1
// GFX12: v_mul_f16_e64_dpp v5, v1, v2 row_ror:1 row_mask:0xf bank_mask:0xf ; encoding: [0x05,0x00,0x35,0xd5,0xfa,0x04,0x02,0x00,0x01,0x21,0x01,0xff]

v_mul_f16_e64_dpp v5, v1, v2 row_ror:15
// GFX12: v_mul_f16_e64_dpp v5, v1, v2 row_ror:15 row_mask:0xf bank_mask:0xf ; encoding: [0x05,0x00,0x35,0xd5,0xfa,0x04,0x02,0x00,0x01,0x2f,0x01,0xff]

v_mul_f16_e64_dpp v5, v1, v2 row_share:0 row_mask:0xf bank_mask:0xf
// GFX12: v_mul_f16_e64_dpp v5, v1, v2 row_share:0 row_mask:0xf bank_mask:0xf ; encoding: [0x05,0x00,0x35,0xd5,0xfa,0x04,0x02,0x00,0x01,0x50,0x01,0xff]

v_mul_f16_e64_dpp v5, |v1|, -v2 mul:2 row_share:15 row_mask:0x0 bank_mask:0x1
// GFX12: v_mul_f16_e64_dpp v5, |v1|, -v2 mul:2 row_share:15 row_mask:0x0 bank_mask:0x1 ; encoding: [0x05,0x01,0x35,0xd5,0xfa,0x04,0x02,0x48,0x01,0x5f,0x01,0x01]

v_mul_f16_e64_dpp v5, -v1, |v2| mul:4 row_xmask:0 row_mask:0x1 bank_mask:0x3 bound_ctrl:1 fi:0
// GFX12: v_mul_f16_e64_dpp v5, -v1, |v2| mul:4 row_xmask:0 row_mask:0x1 bank_mask:0x3 bound_ctrl:1 ; encoding: [0x05,0x02,0x35,0xd5,0xfa,0x04,0x02,0x30,0x01,0x60,0x09,0x13]

v_mul_f16_e64_dpp v255, -|v255|, -|v255| clamp div:2 row_xmask:15 row_mask:0x3 bank_mask:0x0 bound_ctrl:0 fi:1
// GFX12: v_mul_f16_e64_dpp v255, -|v255|, -|v255| clamp div:2 row_xmask:15 row_mask:0x3 bank_mask:0x0 fi:1 ; encoding: [0xff,0x83,0x35,0xd5,0xfa,0xfe,0x03,0x78,0xff,0x6f,0x05,0x30]

v_mul_f32_e64_dpp v5, v1, v2 quad_perm:[3,2,1,0]
// GFX12: v_mul_f32_e64_dpp v5, v1, v2 quad_perm:[3,2,1,0] row_mask:0xf bank_mask:0xf ; encoding: [0x05,0x00,0x08,0xd5,0xfa,0x04,0x02,0x00,0x01,0x1b,0x00,0xff]

v_mul_f32_e64_dpp v5, v1, v2 quad_perm:[0,1,2,3]
// GFX12: v_mul_f32_e64_dpp v5, v1, v2 quad_perm:[0,1,2,3] row_mask:0xf bank_mask:0xf ; encoding: [0x05,0x00,0x08,0xd5,0xfa,0x04,0x02,0x00,0x01,0xe4,0x00,0xff]

v_mul_f32_e64_dpp v5, v1, v2 row_mirror
// GFX12: v_mul_f32_e64_dpp v5, v1, v2 row_mirror row_mask:0xf bank_mask:0xf ; encoding: [0x05,0x00,0x08,0xd5,0xfa,0x04,0x02,0x00,0x01,0x40,0x01,0xff]

v_mul_f32_e64_dpp v5, v1, v2 row_half_mirror
// GFX12: v_mul_f32_e64_dpp v5, v1, v2 row_half_mirror row_mask:0xf bank_mask:0xf ; encoding: [0x05,0x00,0x08,0xd5,0xfa,0x04,0x02,0x00,0x01,0x41,0x01,0xff]

v_mul_f32_e64_dpp v5, v1, v2 row_shl:1
// GFX12: v_mul_f32_e64_dpp v5, v1, v2 row_shl:1 row_mask:0xf bank_mask:0xf ; encoding: [0x05,0x00,0x08,0xd5,0xfa,0x04,0x02,0x00,0x01,0x01,0x01,0xff]

v_mul_f32_e64_dpp v5, v1, v2 row_shl:15
// GFX12: v_mul_f32_e64_dpp v5, v1, v2 row_shl:15 row_mask:0xf bank_mask:0xf ; encoding: [0x05,0x00,0x08,0xd5,0xfa,0x04,0x02,0x00,0x01,0x0f,0x01,0xff]

v_mul_f32_e64_dpp v5, v1, s2 row_shl:15
// GFX12: v_mul_f32_e64_dpp v5, v1, s2 row_shl:15 row_mask:0xf bank_mask:0xf ; encoding: [0x05,0x00,0x08,0xd5,0xfa,0x04,0x00,0x00,0x01,0x0f,0x01,0xff]

v_mul_f32_e64_dpp v5, v1, 2.0 row_shl:15
// GFX12: v_mul_f32_e64_dpp v5, v1, 2.0 row_shl:15 row_mask:0xf bank_mask:0xf ; encoding: [0x05,0x00,0x08,0xd5,0xfa,0xe8,0x01,0x00,0x01,0x0f,0x01,0xff]

v_mul_f32_e64_dpp v5, v1, v2 row_shr:1
// GFX12: v_mul_f32_e64_dpp v5, v1, v2 row_shr:1 row_mask:0xf bank_mask:0xf ; encoding: [0x05,0x00,0x08,0xd5,0xfa,0x04,0x02,0x00,0x01,0x11,0x01,0xff]

v_mul_f32_e64_dpp v5, v1, v2 row_shr:15
// GFX12: v_mul_f32_e64_dpp v5, v1, v2 row_shr:15 row_mask:0xf bank_mask:0xf ; encoding: [0x05,0x00,0x08,0xd5,0xfa,0x04,0x02,0x00,0x01,0x1f,0x01,0xff]

v_mul_f32_e64_dpp v5, v1, v2 row_ror:1
// GFX12: v_mul_f32_e64_dpp v5, v1, v2 row_ror:1 row_mask:0xf bank_mask:0xf ; encoding: [0x05,0x00,0x08,0xd5,0xfa,0x04,0x02,0x00,0x01,0x21,0x01,0xff]

v_mul_f32_e64_dpp v5, v1, v2 row_ror:15
// GFX12: v_mul_f32_e64_dpp v5, v1, v2 row_ror:15 row_mask:0xf bank_mask:0xf ; encoding: [0x05,0x00,0x08,0xd5,0xfa,0x04,0x02,0x00,0x01,0x2f,0x01,0xff]

v_mul_f32_e64_dpp v5, v1, v2 row_share:0 row_mask:0xf bank_mask:0xf
// GFX12: v_mul_f32_e64_dpp v5, v1, v2 row_share:0 row_mask:0xf bank_mask:0xf ; encoding: [0x05,0x00,0x08,0xd5,0xfa,0x04,0x02,0x00,0x01,0x50,0x01,0xff]

v_mul_f32_e64_dpp v5, |v1|, -v2 mul:2 row_share:15 row_mask:0x0 bank_mask:0x1
// GFX12: v_mul_f32_e64_dpp v5, |v1|, -v2 mul:2 row_share:15 row_mask:0x0 bank_mask:0x1 ; encoding: [0x05,0x01,0x08,0xd5,0xfa,0x04,0x02,0x48,0x01,0x5f,0x01,0x01]

v_mul_f32_e64_dpp v5, -v1, |v2| mul:4 row_xmask:0 row_mask:0x1 bank_mask:0x3 bound_ctrl:1 fi:0
// GFX12: v_mul_f32_e64_dpp v5, -v1, |v2| mul:4 row_xmask:0 row_mask:0x1 bank_mask:0x3 bound_ctrl:1 ; encoding: [0x05,0x02,0x08,0xd5,0xfa,0x04,0x02,0x30,0x01,0x60,0x09,0x13]

v_mul_f32_e64_dpp v255, -|v255|, -|v255| clamp div:2 row_xmask:15 row_mask:0x3 bank_mask:0x0 bound_ctrl:0 fi:1
// GFX12: v_mul_f32_e64_dpp v255, -|v255|, -|v255| clamp div:2 row_xmask:15 row_mask:0x3 bank_mask:0x0 fi:1 ; encoding: [0xff,0x83,0x08,0xd5,0xfa,0xfe,0x03,0x78,0xff,0x6f,0x05,0x30]

v_mul_hi_i32_i24_e64_dpp v5, v1, v2 quad_perm:[3,2,1,0]
// GFX12: v_mul_hi_i32_i24_e64_dpp v5, v1, v2 quad_perm:[3,2,1,0] row_mask:0xf bank_mask:0xf ; encoding: [0x05,0x00,0x0a,0xd5,0xfa,0x04,0x02,0x00,0x01,0x1b,0x00,0xff]

v_mul_hi_i32_i24_e64_dpp v5, v1, v2 quad_perm:[0,1,2,3]
// GFX12: v_mul_hi_i32_i24_e64_dpp v5, v1, v2 quad_perm:[0,1,2,3] row_mask:0xf bank_mask:0xf ; encoding: [0x05,0x00,0x0a,0xd5,0xfa,0x04,0x02,0x00,0x01,0xe4,0x00,0xff]

v_mul_hi_i32_i24_e64_dpp v5, v1, v2 row_mirror
// GFX12: v_mul_hi_i32_i24_e64_dpp v5, v1, v2 row_mirror row_mask:0xf bank_mask:0xf ; encoding: [0x05,0x00,0x0a,0xd5,0xfa,0x04,0x02,0x00,0x01,0x40,0x01,0xff]

v_mul_hi_i32_i24_e64_dpp v5, v1, v2 row_half_mirror
// GFX12: v_mul_hi_i32_i24_e64_dpp v5, v1, v2 row_half_mirror row_mask:0xf bank_mask:0xf ; encoding: [0x05,0x00,0x0a,0xd5,0xfa,0x04,0x02,0x00,0x01,0x41,0x01,0xff]

v_mul_hi_i32_i24_e64_dpp v5, v1, v2 row_shl:1
// GFX12: v_mul_hi_i32_i24_e64_dpp v5, v1, v2 row_shl:1 row_mask:0xf bank_mask:0xf ; encoding: [0x05,0x00,0x0a,0xd5,0xfa,0x04,0x02,0x00,0x01,0x01,0x01,0xff]

v_mul_hi_i32_i24_e64_dpp v5, v1, v2 row_shl:15
// GFX12: v_mul_hi_i32_i24_e64_dpp v5, v1, v2 row_shl:15 row_mask:0xf bank_mask:0xf ; encoding: [0x05,0x00,0x0a,0xd5,0xfa,0x04,0x02,0x00,0x01,0x0f,0x01,0xff]
	;; [unrolled: 3-line block ×4, first 2 shown]

v_mul_hi_i32_i24_e64_dpp v5, v1, v2 row_shr:1
// GFX12: v_mul_hi_i32_i24_e64_dpp v5, v1, v2 row_shr:1 row_mask:0xf bank_mask:0xf ; encoding: [0x05,0x00,0x0a,0xd5,0xfa,0x04,0x02,0x00,0x01,0x11,0x01,0xff]

v_mul_hi_i32_i24_e64_dpp v5, v1, v2 row_shr:15
// GFX12: v_mul_hi_i32_i24_e64_dpp v5, v1, v2 row_shr:15 row_mask:0xf bank_mask:0xf ; encoding: [0x05,0x00,0x0a,0xd5,0xfa,0x04,0x02,0x00,0x01,0x1f,0x01,0xff]

v_mul_hi_i32_i24_e64_dpp v5, v1, v2 row_ror:1
// GFX12: v_mul_hi_i32_i24_e64_dpp v5, v1, v2 row_ror:1 row_mask:0xf bank_mask:0xf ; encoding: [0x05,0x00,0x0a,0xd5,0xfa,0x04,0x02,0x00,0x01,0x21,0x01,0xff]

v_mul_hi_i32_i24_e64_dpp v5, v1, v2 row_ror:15
// GFX12: v_mul_hi_i32_i24_e64_dpp v5, v1, v2 row_ror:15 row_mask:0xf bank_mask:0xf ; encoding: [0x05,0x00,0x0a,0xd5,0xfa,0x04,0x02,0x00,0x01,0x2f,0x01,0xff]

v_mul_hi_i32_i24_e64_dpp v5, v1, v2 row_share:0 row_mask:0xf bank_mask:0xf
// GFX12: v_mul_hi_i32_i24_e64_dpp v5, v1, v2 row_share:0 row_mask:0xf bank_mask:0xf ; encoding: [0x05,0x00,0x0a,0xd5,0xfa,0x04,0x02,0x00,0x01,0x50,0x01,0xff]

v_mul_hi_i32_i24_e64_dpp v5, v1, v2 row_share:15 row_mask:0x0 bank_mask:0x1
// GFX12: v_mul_hi_i32_i24_e64_dpp v5, v1, v2 row_share:15 row_mask:0x0 bank_mask:0x1 ; encoding: [0x05,0x00,0x0a,0xd5,0xfa,0x04,0x02,0x00,0x01,0x5f,0x01,0x01]

v_mul_hi_i32_i24_e64_dpp v5, v1, v2 row_xmask:0 row_mask:0x1 bank_mask:0x3 bound_ctrl:1 fi:0
// GFX12: v_mul_hi_i32_i24_e64_dpp v5, v1, v2 row_xmask:0 row_mask:0x1 bank_mask:0x3 bound_ctrl:1 ; encoding: [0x05,0x00,0x0a,0xd5,0xfa,0x04,0x02,0x00,0x01,0x60,0x09,0x13]

v_mul_hi_i32_i24_e64_dpp v255, v255, v255 row_xmask:15 row_mask:0x3 bank_mask:0x0 bound_ctrl:0 fi:1
// GFX12: v_mul_hi_i32_i24_e64_dpp v255, v255, v255 row_xmask:15 row_mask:0x3 bank_mask:0x0 fi:1 ; encoding: [0xff,0x00,0x0a,0xd5,0xfa,0xfe,0x03,0x00,0xff,0x6f,0x05,0x30]

v_mul_hi_u32_u24_e64_dpp v5, v1, v2 quad_perm:[3,2,1,0]
// GFX12: v_mul_hi_u32_u24_e64_dpp v5, v1, v2 quad_perm:[3,2,1,0] row_mask:0xf bank_mask:0xf ; encoding: [0x05,0x00,0x0c,0xd5,0xfa,0x04,0x02,0x00,0x01,0x1b,0x00,0xff]

v_mul_hi_u32_u24_e64_dpp v5, v1, v2 quad_perm:[0,1,2,3]
// GFX12: v_mul_hi_u32_u24_e64_dpp v5, v1, v2 quad_perm:[0,1,2,3] row_mask:0xf bank_mask:0xf ; encoding: [0x05,0x00,0x0c,0xd5,0xfa,0x04,0x02,0x00,0x01,0xe4,0x00,0xff]

v_mul_hi_u32_u24_e64_dpp v5, v1, v2 row_mirror
// GFX12: v_mul_hi_u32_u24_e64_dpp v5, v1, v2 row_mirror row_mask:0xf bank_mask:0xf ; encoding: [0x05,0x00,0x0c,0xd5,0xfa,0x04,0x02,0x00,0x01,0x40,0x01,0xff]

v_mul_hi_u32_u24_e64_dpp v5, v1, v2 row_half_mirror
// GFX12: v_mul_hi_u32_u24_e64_dpp v5, v1, v2 row_half_mirror row_mask:0xf bank_mask:0xf ; encoding: [0x05,0x00,0x0c,0xd5,0xfa,0x04,0x02,0x00,0x01,0x41,0x01,0xff]

v_mul_hi_u32_u24_e64_dpp v5, v1, v2 row_shl:1
// GFX12: v_mul_hi_u32_u24_e64_dpp v5, v1, v2 row_shl:1 row_mask:0xf bank_mask:0xf ; encoding: [0x05,0x00,0x0c,0xd5,0xfa,0x04,0x02,0x00,0x01,0x01,0x01,0xff]

v_mul_hi_u32_u24_e64_dpp v5, v1, v2 row_shl:15
// GFX12: v_mul_hi_u32_u24_e64_dpp v5, v1, v2 row_shl:15 row_mask:0xf bank_mask:0xf ; encoding: [0x05,0x00,0x0c,0xd5,0xfa,0x04,0x02,0x00,0x01,0x0f,0x01,0xff]
	;; [unrolled: 3-line block ×4, first 2 shown]

v_mul_hi_u32_u24_e64_dpp v5, v1, v2 row_shr:1
// GFX12: v_mul_hi_u32_u24_e64_dpp v5, v1, v2 row_shr:1 row_mask:0xf bank_mask:0xf ; encoding: [0x05,0x00,0x0c,0xd5,0xfa,0x04,0x02,0x00,0x01,0x11,0x01,0xff]

v_mul_hi_u32_u24_e64_dpp v5, v1, v2 row_shr:15
// GFX12: v_mul_hi_u32_u24_e64_dpp v5, v1, v2 row_shr:15 row_mask:0xf bank_mask:0xf ; encoding: [0x05,0x00,0x0c,0xd5,0xfa,0x04,0x02,0x00,0x01,0x1f,0x01,0xff]

v_mul_hi_u32_u24_e64_dpp v5, v1, v2 row_ror:1
// GFX12: v_mul_hi_u32_u24_e64_dpp v5, v1, v2 row_ror:1 row_mask:0xf bank_mask:0xf ; encoding: [0x05,0x00,0x0c,0xd5,0xfa,0x04,0x02,0x00,0x01,0x21,0x01,0xff]

v_mul_hi_u32_u24_e64_dpp v5, v1, v2 row_ror:15
// GFX12: v_mul_hi_u32_u24_e64_dpp v5, v1, v2 row_ror:15 row_mask:0xf bank_mask:0xf ; encoding: [0x05,0x00,0x0c,0xd5,0xfa,0x04,0x02,0x00,0x01,0x2f,0x01,0xff]

v_mul_hi_u32_u24_e64_dpp v5, v1, v2 row_share:0 row_mask:0xf bank_mask:0xf
// GFX12: v_mul_hi_u32_u24_e64_dpp v5, v1, v2 row_share:0 row_mask:0xf bank_mask:0xf ; encoding: [0x05,0x00,0x0c,0xd5,0xfa,0x04,0x02,0x00,0x01,0x50,0x01,0xff]

v_mul_hi_u32_u24_e64_dpp v5, v1, v2 row_share:15 row_mask:0x0 bank_mask:0x1
// GFX12: v_mul_hi_u32_u24_e64_dpp v5, v1, v2 row_share:15 row_mask:0x0 bank_mask:0x1 ; encoding: [0x05,0x00,0x0c,0xd5,0xfa,0x04,0x02,0x00,0x01,0x5f,0x01,0x01]

v_mul_hi_u32_u24_e64_dpp v5, v1, v2 row_xmask:0 row_mask:0x1 bank_mask:0x3 bound_ctrl:1 fi:0
// GFX12: v_mul_hi_u32_u24_e64_dpp v5, v1, v2 row_xmask:0 row_mask:0x1 bank_mask:0x3 bound_ctrl:1 ; encoding: [0x05,0x00,0x0c,0xd5,0xfa,0x04,0x02,0x00,0x01,0x60,0x09,0x13]

v_mul_hi_u32_u24_e64_dpp v255, v255, v255 row_xmask:15 row_mask:0x3 bank_mask:0x0 bound_ctrl:0 fi:1
// GFX12: v_mul_hi_u32_u24_e64_dpp v255, v255, v255 row_xmask:15 row_mask:0x3 bank_mask:0x0 fi:1 ; encoding: [0xff,0x00,0x0c,0xd5,0xfa,0xfe,0x03,0x00,0xff,0x6f,0x05,0x30]

v_mul_i32_i24_e64_dpp v5, v1, v2 quad_perm:[3,2,1,0]
// GFX12: v_mul_i32_i24_e64_dpp v5, v1, v2 quad_perm:[3,2,1,0] row_mask:0xf bank_mask:0xf ; encoding: [0x05,0x00,0x09,0xd5,0xfa,0x04,0x02,0x00,0x01,0x1b,0x00,0xff]

v_mul_i32_i24_e64_dpp v5, v1, v2 quad_perm:[0,1,2,3]
// GFX12: v_mul_i32_i24_e64_dpp v5, v1, v2 quad_perm:[0,1,2,3] row_mask:0xf bank_mask:0xf ; encoding: [0x05,0x00,0x09,0xd5,0xfa,0x04,0x02,0x00,0x01,0xe4,0x00,0xff]

v_mul_i32_i24_e64_dpp v5, v1, v2 row_mirror
// GFX12: v_mul_i32_i24_e64_dpp v5, v1, v2 row_mirror row_mask:0xf bank_mask:0xf ; encoding: [0x05,0x00,0x09,0xd5,0xfa,0x04,0x02,0x00,0x01,0x40,0x01,0xff]

v_mul_i32_i24_e64_dpp v5, v1, v2 row_half_mirror
// GFX12: v_mul_i32_i24_e64_dpp v5, v1, v2 row_half_mirror row_mask:0xf bank_mask:0xf ; encoding: [0x05,0x00,0x09,0xd5,0xfa,0x04,0x02,0x00,0x01,0x41,0x01,0xff]

v_mul_i32_i24_e64_dpp v5, v1, v2 row_shl:1
// GFX12: v_mul_i32_i24_e64_dpp v5, v1, v2 row_shl:1 row_mask:0xf bank_mask:0xf ; encoding: [0x05,0x00,0x09,0xd5,0xfa,0x04,0x02,0x00,0x01,0x01,0x01,0xff]

v_mul_i32_i24_e64_dpp v5, v1, v2 row_shl:15
// GFX12: v_mul_i32_i24_e64_dpp v5, v1, v2 row_shl:15 row_mask:0xf bank_mask:0xf ; encoding: [0x05,0x00,0x09,0xd5,0xfa,0x04,0x02,0x00,0x01,0x0f,0x01,0xff]
	;; [unrolled: 3-line block ×4, first 2 shown]

v_mul_i32_i24_e64_dpp v5, v1, v2 row_shr:1
// GFX12: v_mul_i32_i24_e64_dpp v5, v1, v2 row_shr:1 row_mask:0xf bank_mask:0xf ; encoding: [0x05,0x00,0x09,0xd5,0xfa,0x04,0x02,0x00,0x01,0x11,0x01,0xff]

v_mul_i32_i24_e64_dpp v5, v1, v2 row_shr:15
// GFX12: v_mul_i32_i24_e64_dpp v5, v1, v2 row_shr:15 row_mask:0xf bank_mask:0xf ; encoding: [0x05,0x00,0x09,0xd5,0xfa,0x04,0x02,0x00,0x01,0x1f,0x01,0xff]

v_mul_i32_i24_e64_dpp v5, v1, v2 row_ror:1
// GFX12: v_mul_i32_i24_e64_dpp v5, v1, v2 row_ror:1 row_mask:0xf bank_mask:0xf ; encoding: [0x05,0x00,0x09,0xd5,0xfa,0x04,0x02,0x00,0x01,0x21,0x01,0xff]

v_mul_i32_i24_e64_dpp v5, v1, v2 row_ror:15
// GFX12: v_mul_i32_i24_e64_dpp v5, v1, v2 row_ror:15 row_mask:0xf bank_mask:0xf ; encoding: [0x05,0x00,0x09,0xd5,0xfa,0x04,0x02,0x00,0x01,0x2f,0x01,0xff]

v_mul_i32_i24_e64_dpp v5, v1, v2 row_share:0 row_mask:0xf bank_mask:0xf
// GFX12: v_mul_i32_i24_e64_dpp v5, v1, v2 row_share:0 row_mask:0xf bank_mask:0xf ; encoding: [0x05,0x00,0x09,0xd5,0xfa,0x04,0x02,0x00,0x01,0x50,0x01,0xff]

v_mul_i32_i24_e64_dpp v5, v1, v2 row_share:15 row_mask:0x0 bank_mask:0x1
// GFX12: v_mul_i32_i24_e64_dpp v5, v1, v2 row_share:15 row_mask:0x0 bank_mask:0x1 ; encoding: [0x05,0x00,0x09,0xd5,0xfa,0x04,0x02,0x00,0x01,0x5f,0x01,0x01]

v_mul_i32_i24_e64_dpp v5, v1, v2 row_xmask:0 row_mask:0x1 bank_mask:0x3 bound_ctrl:1 fi:0
// GFX12: v_mul_i32_i24_e64_dpp v5, v1, v2 row_xmask:0 row_mask:0x1 bank_mask:0x3 bound_ctrl:1 ; encoding: [0x05,0x00,0x09,0xd5,0xfa,0x04,0x02,0x00,0x01,0x60,0x09,0x13]

v_mul_i32_i24_e64_dpp v255, v255, v255 clamp row_xmask:15 row_mask:0x3 bank_mask:0x0 bound_ctrl:0 fi:1
// GFX12: v_mul_i32_i24_e64_dpp v255, v255, v255 clamp row_xmask:15 row_mask:0x3 bank_mask:0x0 fi:1 ; encoding: [0xff,0x80,0x09,0xd5,0xfa,0xfe,0x03,0x00,0xff,0x6f,0x05,0x30]

v_mul_legacy_f32_e64_dpp v5, v1, v2 quad_perm:[3,2,1,0]
// GFX12: v_mul_dx9_zero_f32_e64_dpp v5, v1, v2 quad_perm:[3,2,1,0] row_mask:0xf bank_mask:0xf ; encoding: [0x05,0x00,0x07,0xd5,0xfa,0x04,0x02,0x00,0x01,0x1b,0x00,0xff]

v_mul_legacy_f32_e64_dpp v5, v1, v2 quad_perm:[0,1,2,3]
// GFX12: v_mul_dx9_zero_f32_e64_dpp v5, v1, v2 quad_perm:[0,1,2,3] row_mask:0xf bank_mask:0xf ; encoding: [0x05,0x00,0x07,0xd5,0xfa,0x04,0x02,0x00,0x01,0xe4,0x00,0xff]

v_mul_legacy_f32_e64_dpp v5, v1, v2 row_mirror
// GFX12: v_mul_dx9_zero_f32_e64_dpp v5, v1, v2 row_mirror row_mask:0xf bank_mask:0xf ; encoding: [0x05,0x00,0x07,0xd5,0xfa,0x04,0x02,0x00,0x01,0x40,0x01,0xff]

v_mul_legacy_f32_e64_dpp v5, v1, v2 row_half_mirror
// GFX12: v_mul_dx9_zero_f32_e64_dpp v5, v1, v2 row_half_mirror row_mask:0xf bank_mask:0xf ; encoding: [0x05,0x00,0x07,0xd5,0xfa,0x04,0x02,0x00,0x01,0x41,0x01,0xff]

v_mul_legacy_f32_e64_dpp v5, v1, v2 row_shl:1
// GFX12: v_mul_dx9_zero_f32_e64_dpp v5, v1, v2 row_shl:1 row_mask:0xf bank_mask:0xf ; encoding: [0x05,0x00,0x07,0xd5,0xfa,0x04,0x02,0x00,0x01,0x01,0x01,0xff]

v_mul_legacy_f32_e64_dpp v5, v1, v2 row_shl:15
// GFX12: v_mul_dx9_zero_f32_e64_dpp v5, v1, v2 row_shl:15 row_mask:0xf bank_mask:0xf ; encoding: [0x05,0x00,0x07,0xd5,0xfa,0x04,0x02,0x00,0x01,0x0f,0x01,0xff]
	;; [unrolled: 3-line block ×3, first 2 shown]

v_mul_legacy_f32_e64_dpp v5, v1, 2.0 row_shl:15
// GFX12: v_mul_dx9_zero_f32_e64_dpp v5, v1, 2.0 row_shl:15 row_mask:0xf bank_mask:0xf ; encoding: [0x05,0x00,0x07,0xd5,0xfa,0xe8,0x01,0x00,0x01,0x0f,0x01,0xff]

v_mul_legacy_f32_e64_dpp v5, v1, v2 row_shr:1
// GFX12: v_mul_dx9_zero_f32_e64_dpp v5, v1, v2 row_shr:1 row_mask:0xf bank_mask:0xf ; encoding: [0x05,0x00,0x07,0xd5,0xfa,0x04,0x02,0x00,0x01,0x11,0x01,0xff]

v_mul_legacy_f32_e64_dpp v5, v1, v2 row_shr:15
// GFX12: v_mul_dx9_zero_f32_e64_dpp v5, v1, v2 row_shr:15 row_mask:0xf bank_mask:0xf ; encoding: [0x05,0x00,0x07,0xd5,0xfa,0x04,0x02,0x00,0x01,0x1f,0x01,0xff]

v_mul_legacy_f32_e64_dpp v5, v1, v2 row_ror:1
// GFX12: v_mul_dx9_zero_f32_e64_dpp v5, v1, v2 row_ror:1 row_mask:0xf bank_mask:0xf ; encoding: [0x05,0x00,0x07,0xd5,0xfa,0x04,0x02,0x00,0x01,0x21,0x01,0xff]

v_mul_legacy_f32_e64_dpp v5, v1, v2 row_ror:15
// GFX12: v_mul_dx9_zero_f32_e64_dpp v5, v1, v2 row_ror:15 row_mask:0xf bank_mask:0xf ; encoding: [0x05,0x00,0x07,0xd5,0xfa,0x04,0x02,0x00,0x01,0x2f,0x01,0xff]

v_mul_legacy_f32_e64_dpp v5, v1, v2 row_share:0 row_mask:0xf bank_mask:0xf
// GFX12: v_mul_dx9_zero_f32_e64_dpp v5, v1, v2 row_share:0 row_mask:0xf bank_mask:0xf ; encoding: [0x05,0x00,0x07,0xd5,0xfa,0x04,0x02,0x00,0x01,0x50,0x01,0xff]

v_mul_legacy_f32_e64_dpp v5, |v1|, -v2 mul:2 row_share:15 row_mask:0x0 bank_mask:0x1
// GFX12: v_mul_dx9_zero_f32_e64_dpp v5, |v1|, -v2 mul:2 row_share:15 row_mask:0x0 bank_mask:0x1 ; encoding: [0x05,0x01,0x07,0xd5,0xfa,0x04,0x02,0x48,0x01,0x5f,0x01,0x01]

v_mul_legacy_f32_e64_dpp v5, -v1, |v2| mul:4 row_xmask:0 row_mask:0x1 bank_mask:0x3 bound_ctrl:1 fi:0
// GFX12: v_mul_dx9_zero_f32_e64_dpp v5, -v1, |v2| mul:4 row_xmask:0 row_mask:0x1 bank_mask:0x3 bound_ctrl:1 ; encoding: [0x05,0x02,0x07,0xd5,0xfa,0x04,0x02,0x30,0x01,0x60,0x09,0x13]

v_mul_legacy_f32_e64_dpp v255, -|v255|, -|v255| clamp div:2 row_xmask:15 row_mask:0x3 bank_mask:0x0 bound_ctrl:0 fi:1
// GFX12: v_mul_dx9_zero_f32_e64_dpp v255, -|v255|, -|v255| clamp div:2 row_xmask:15 row_mask:0x3 bank_mask:0x0 fi:1 ; encoding: [0xff,0x83,0x07,0xd5,0xfa,0xfe,0x03,0x78,0xff,0x6f,0x05,0x30]

v_mul_u32_u24_e64_dpp v5, v1, v2 quad_perm:[3,2,1,0]
// GFX12: v_mul_u32_u24_e64_dpp v5, v1, v2 quad_perm:[3,2,1,0] row_mask:0xf bank_mask:0xf ; encoding: [0x05,0x00,0x0b,0xd5,0xfa,0x04,0x02,0x00,0x01,0x1b,0x00,0xff]

v_mul_u32_u24_e64_dpp v5, v1, v2 quad_perm:[0,1,2,3]
// GFX12: v_mul_u32_u24_e64_dpp v5, v1, v2 quad_perm:[0,1,2,3] row_mask:0xf bank_mask:0xf ; encoding: [0x05,0x00,0x0b,0xd5,0xfa,0x04,0x02,0x00,0x01,0xe4,0x00,0xff]

v_mul_u32_u24_e64_dpp v5, v1, v2 row_mirror
// GFX12: v_mul_u32_u24_e64_dpp v5, v1, v2 row_mirror row_mask:0xf bank_mask:0xf ; encoding: [0x05,0x00,0x0b,0xd5,0xfa,0x04,0x02,0x00,0x01,0x40,0x01,0xff]

v_mul_u32_u24_e64_dpp v5, v1, v2 row_half_mirror
// GFX12: v_mul_u32_u24_e64_dpp v5, v1, v2 row_half_mirror row_mask:0xf bank_mask:0xf ; encoding: [0x05,0x00,0x0b,0xd5,0xfa,0x04,0x02,0x00,0x01,0x41,0x01,0xff]

v_mul_u32_u24_e64_dpp v5, v1, v2 row_shl:1
// GFX12: v_mul_u32_u24_e64_dpp v5, v1, v2 row_shl:1 row_mask:0xf bank_mask:0xf ; encoding: [0x05,0x00,0x0b,0xd5,0xfa,0x04,0x02,0x00,0x01,0x01,0x01,0xff]

v_mul_u32_u24_e64_dpp v5, v1, v2 row_shl:15
// GFX12: v_mul_u32_u24_e64_dpp v5, v1, v2 row_shl:15 row_mask:0xf bank_mask:0xf ; encoding: [0x05,0x00,0x0b,0xd5,0xfa,0x04,0x02,0x00,0x01,0x0f,0x01,0xff]
	;; [unrolled: 3-line block ×4, first 2 shown]

v_mul_u32_u24_e64_dpp v5, v1, v2 row_shr:1
// GFX12: v_mul_u32_u24_e64_dpp v5, v1, v2 row_shr:1 row_mask:0xf bank_mask:0xf ; encoding: [0x05,0x00,0x0b,0xd5,0xfa,0x04,0x02,0x00,0x01,0x11,0x01,0xff]

v_mul_u32_u24_e64_dpp v5, v1, v2 row_shr:15
// GFX12: v_mul_u32_u24_e64_dpp v5, v1, v2 row_shr:15 row_mask:0xf bank_mask:0xf ; encoding: [0x05,0x00,0x0b,0xd5,0xfa,0x04,0x02,0x00,0x01,0x1f,0x01,0xff]

v_mul_u32_u24_e64_dpp v5, v1, v2 row_ror:1
// GFX12: v_mul_u32_u24_e64_dpp v5, v1, v2 row_ror:1 row_mask:0xf bank_mask:0xf ; encoding: [0x05,0x00,0x0b,0xd5,0xfa,0x04,0x02,0x00,0x01,0x21,0x01,0xff]

v_mul_u32_u24_e64_dpp v5, v1, v2 row_ror:15
// GFX12: v_mul_u32_u24_e64_dpp v5, v1, v2 row_ror:15 row_mask:0xf bank_mask:0xf ; encoding: [0x05,0x00,0x0b,0xd5,0xfa,0x04,0x02,0x00,0x01,0x2f,0x01,0xff]

v_mul_u32_u24_e64_dpp v5, v1, v2 row_share:0 row_mask:0xf bank_mask:0xf
// GFX12: v_mul_u32_u24_e64_dpp v5, v1, v2 row_share:0 row_mask:0xf bank_mask:0xf ; encoding: [0x05,0x00,0x0b,0xd5,0xfa,0x04,0x02,0x00,0x01,0x50,0x01,0xff]

v_mul_u32_u24_e64_dpp v5, v1, v2 row_share:15 row_mask:0x0 bank_mask:0x1
// GFX12: v_mul_u32_u24_e64_dpp v5, v1, v2 row_share:15 row_mask:0x0 bank_mask:0x1 ; encoding: [0x05,0x00,0x0b,0xd5,0xfa,0x04,0x02,0x00,0x01,0x5f,0x01,0x01]

v_mul_u32_u24_e64_dpp v5, v1, v2 row_xmask:0 row_mask:0x1 bank_mask:0x3 bound_ctrl:1 fi:0
// GFX12: v_mul_u32_u24_e64_dpp v5, v1, v2 row_xmask:0 row_mask:0x1 bank_mask:0x3 bound_ctrl:1 ; encoding: [0x05,0x00,0x0b,0xd5,0xfa,0x04,0x02,0x00,0x01,0x60,0x09,0x13]

v_mul_u32_u24_e64_dpp v255, v255, v255 clamp row_xmask:15 row_mask:0x3 bank_mask:0x0 bound_ctrl:0 fi:1
// GFX12: v_mul_u32_u24_e64_dpp v255, v255, v255 clamp row_xmask:15 row_mask:0x3 bank_mask:0x0 fi:1 ; encoding: [0xff,0x80,0x0b,0xd5,0xfa,0xfe,0x03,0x00,0xff,0x6f,0x05,0x30]

v_or_b32_e64_dpp v5, v1, v2 quad_perm:[3,2,1,0]
// GFX12: v_or_b32_e64_dpp v5, v1, v2 quad_perm:[3,2,1,0] row_mask:0xf bank_mask:0xf ; encoding: [0x05,0x00,0x1c,0xd5,0xfa,0x04,0x02,0x00,0x01,0x1b,0x00,0xff]

v_or_b32_e64_dpp v5, v1, v2 quad_perm:[0,1,2,3]
// GFX12: v_or_b32_e64_dpp v5, v1, v2 quad_perm:[0,1,2,3] row_mask:0xf bank_mask:0xf ; encoding: [0x05,0x00,0x1c,0xd5,0xfa,0x04,0x02,0x00,0x01,0xe4,0x00,0xff]

v_or_b32_e64_dpp v5, v1, v2 row_mirror
// GFX12: v_or_b32_e64_dpp v5, v1, v2 row_mirror row_mask:0xf bank_mask:0xf ; encoding: [0x05,0x00,0x1c,0xd5,0xfa,0x04,0x02,0x00,0x01,0x40,0x01,0xff]

v_or_b32_e64_dpp v5, v1, v2 row_half_mirror
// GFX12: v_or_b32_e64_dpp v5, v1, v2 row_half_mirror row_mask:0xf bank_mask:0xf ; encoding: [0x05,0x00,0x1c,0xd5,0xfa,0x04,0x02,0x00,0x01,0x41,0x01,0xff]

v_or_b32_e64_dpp v5, v1, v2 row_shl:1
// GFX12: v_or_b32_e64_dpp v5, v1, v2 row_shl:1 row_mask:0xf bank_mask:0xf ; encoding: [0x05,0x00,0x1c,0xd5,0xfa,0x04,0x02,0x00,0x01,0x01,0x01,0xff]

v_or_b32_e64_dpp v5, v1, v2 row_shl:15
// GFX12: v_or_b32_e64_dpp v5, v1, v2 row_shl:15 row_mask:0xf bank_mask:0xf ; encoding: [0x05,0x00,0x1c,0xd5,0xfa,0x04,0x02,0x00,0x01,0x0f,0x01,0xff]
	;; [unrolled: 3-line block ×4, first 2 shown]

v_or_b32_e64_dpp v5, v1, v2 row_shr:1
// GFX12: v_or_b32_e64_dpp v5, v1, v2 row_shr:1 row_mask:0xf bank_mask:0xf ; encoding: [0x05,0x00,0x1c,0xd5,0xfa,0x04,0x02,0x00,0x01,0x11,0x01,0xff]

v_or_b32_e64_dpp v5, v1, v2 row_shr:15
// GFX12: v_or_b32_e64_dpp v5, v1, v2 row_shr:15 row_mask:0xf bank_mask:0xf ; encoding: [0x05,0x00,0x1c,0xd5,0xfa,0x04,0x02,0x00,0x01,0x1f,0x01,0xff]

v_or_b32_e64_dpp v5, v1, v2 row_ror:1
// GFX12: v_or_b32_e64_dpp v5, v1, v2 row_ror:1 row_mask:0xf bank_mask:0xf ; encoding: [0x05,0x00,0x1c,0xd5,0xfa,0x04,0x02,0x00,0x01,0x21,0x01,0xff]

v_or_b32_e64_dpp v5, v1, v2 row_ror:15
// GFX12: v_or_b32_e64_dpp v5, v1, v2 row_ror:15 row_mask:0xf bank_mask:0xf ; encoding: [0x05,0x00,0x1c,0xd5,0xfa,0x04,0x02,0x00,0x01,0x2f,0x01,0xff]

v_or_b32_e64_dpp v5, v1, v2 row_share:0 row_mask:0xf bank_mask:0xf
// GFX12: v_or_b32_e64_dpp v5, v1, v2 row_share:0 row_mask:0xf bank_mask:0xf ; encoding: [0x05,0x00,0x1c,0xd5,0xfa,0x04,0x02,0x00,0x01,0x50,0x01,0xff]

v_or_b32_e64_dpp v5, v1, v2 row_share:15 row_mask:0x0 bank_mask:0x1
// GFX12: v_or_b32_e64_dpp v5, v1, v2 row_share:15 row_mask:0x0 bank_mask:0x1 ; encoding: [0x05,0x00,0x1c,0xd5,0xfa,0x04,0x02,0x00,0x01,0x5f,0x01,0x01]

v_or_b32_e64_dpp v5, v1, v2 row_xmask:0 row_mask:0x1 bank_mask:0x3 bound_ctrl:1 fi:0
// GFX12: v_or_b32_e64_dpp v5, v1, v2 row_xmask:0 row_mask:0x1 bank_mask:0x3 bound_ctrl:1 ; encoding: [0x05,0x00,0x1c,0xd5,0xfa,0x04,0x02,0x00,0x01,0x60,0x09,0x13]

v_or_b32_e64_dpp v255, v255, v255 row_xmask:15 row_mask:0x3 bank_mask:0x0 bound_ctrl:0 fi:1
// GFX12: v_or_b32_e64_dpp v255, v255, v255 row_xmask:15 row_mask:0x3 bank_mask:0x0 fi:1 ; encoding: [0xff,0x00,0x1c,0xd5,0xfa,0xfe,0x03,0x00,0xff,0x6f,0x05,0x30]

v_sub_co_ci_u32_e64_dpp v5, s6, v1, v2, s3 quad_perm:[3,2,1,0]
// W32: v_sub_co_ci_u32_e64_dpp v5, s6, v1, v2, s3 quad_perm:[3,2,1,0] row_mask:0xf bank_mask:0xf ; encoding: [0x05,0x06,0x21,0xd5,0xfa,0x04,0x0e,0x00,0x01,0x1b,0x00,0xff]
// W64-ERR: :[[@LINE-2]]:29: error: invalid operand for instruction

v_sub_co_ci_u32_e64_dpp v5, s6, v1, v2, s3 quad_perm:[0,1,2,3]
// W32: v_sub_co_ci_u32_e64_dpp v5, s6, v1, v2, s3 quad_perm:[0,1,2,3] row_mask:0xf bank_mask:0xf ; encoding: [0x05,0x06,0x21,0xd5,0xfa,0x04,0x0e,0x00,0x01,0xe4,0x00,0xff]
// W64-ERR: :[[@LINE-2]]:29: error: invalid operand for instruction

v_sub_co_ci_u32_e64_dpp v5, s6, v1, v2, s3 row_mirror
// W32: v_sub_co_ci_u32_e64_dpp v5, s6, v1, v2, s3 row_mirror row_mask:0xf bank_mask:0xf ; encoding: [0x05,0x06,0x21,0xd5,0xfa,0x04,0x0e,0x00,0x01,0x40,0x01,0xff]
// W64-ERR: :[[@LINE-2]]:29: error: invalid operand for instruction

v_sub_co_ci_u32_e64_dpp v5, s6, v1, v2, s3 row_half_mirror
// W32: v_sub_co_ci_u32_e64_dpp v5, s6, v1, v2, s3 row_half_mirror row_mask:0xf bank_mask:0xf ; encoding: [0x05,0x06,0x21,0xd5,0xfa,0x04,0x0e,0x00,0x01,0x41,0x01,0xff]
// W64-ERR: :[[@LINE-2]]:29: error: invalid operand for instruction

v_sub_co_ci_u32_e64_dpp v5, s6, v1, v2, s3 row_shl:1
// W32: v_sub_co_ci_u32_e64_dpp v5, s6, v1, v2, s3 row_shl:1 row_mask:0xf bank_mask:0xf ; encoding: [0x05,0x06,0x21,0xd5,0xfa,0x04,0x0e,0x00,0x01,0x01,0x01,0xff]
// W64-ERR: :[[@LINE-2]]:29: error: invalid operand for instruction

v_sub_co_ci_u32_e64_dpp v5, s6, v1, v2, s3 row_shl:15
// W32: v_sub_co_ci_u32_e64_dpp v5, s6, v1, v2, s3 row_shl:15 row_mask:0xf bank_mask:0xf ; encoding: [0x05,0x06,0x21,0xd5,0xfa,0x04,0x0e,0x00,0x01,0x0f,0x01,0xff]
// W64-ERR: :[[@LINE-2]]:29: error: invalid operand for instruction

v_sub_co_ci_u32_e64_dpp v5, s6, v1, v2, s3 row_shr:1
// W32: v_sub_co_ci_u32_e64_dpp v5, s6, v1, v2, s3 row_shr:1 row_mask:0xf bank_mask:0xf ; encoding: [0x05,0x06,0x21,0xd5,0xfa,0x04,0x0e,0x00,0x01,0x11,0x01,0xff]
// W64-ERR: :[[@LINE-2]]:29: error: invalid operand for instruction

v_sub_co_ci_u32_e64_dpp v5, s6, v1, v2, s3 row_shr:15
// W32: v_sub_co_ci_u32_e64_dpp v5, s6, v1, v2, s3 row_shr:15 row_mask:0xf bank_mask:0xf ; encoding: [0x05,0x06,0x21,0xd5,0xfa,0x04,0x0e,0x00,0x01,0x1f,0x01,0xff]
// W64-ERR: :[[@LINE-2]]:29: error: invalid operand for instruction

v_sub_co_ci_u32_e64_dpp v5, s6, v1, v2, s3 row_ror:1
// W32: v_sub_co_ci_u32_e64_dpp v5, s6, v1, v2, s3 row_ror:1 row_mask:0xf bank_mask:0xf ; encoding: [0x05,0x06,0x21,0xd5,0xfa,0x04,0x0e,0x00,0x01,0x21,0x01,0xff]
// W64-ERR: :[[@LINE-2]]:29: error: invalid operand for instruction

v_sub_co_ci_u32_e64_dpp v5, s105, v1, v2, s105 row_ror:15
// W32: v_sub_co_ci_u32_e64_dpp v5, s105, v1, v2, s105 row_ror:15 row_mask:0xf bank_mask:0xf ; encoding: [0x05,0x69,0x21,0xd5,0xfa,0x04,0xa6,0x01,0x01,0x2f,0x01,0xff]
// W64-ERR: :[[@LINE-2]]:29: error: invalid operand for instruction

v_sub_co_ci_u32_e64_dpp v5, vcc_lo, v1, v2, vcc_hi row_share:0 row_mask:0xf bank_mask:0xf
// W32: v_sub_co_ci_u32_e64_dpp v5, vcc_lo, v1, v2, vcc_hi row_share:0 row_mask:0xf bank_mask:0xf ; encoding: [0x05,0x6a,0x21,0xd5,0xfa,0x04,0xae,0x01,0x01,0x50,0x01,0xff]
// W64-ERR: :[[@LINE-2]]:29: error: invalid operand for instruction

v_sub_co_ci_u32_e64_dpp v5, vcc_hi, v1, v2, vcc_lo row_share:15 row_mask:0x0 bank_mask:0x1
// W32: v_sub_co_ci_u32_e64_dpp v5, vcc_hi, v1, v2, vcc_lo row_share:15 row_mask:0x0 bank_mask:0x1 ; encoding: [0x05,0x6b,0x21,0xd5,0xfa,0x04,0xaa,0x01,0x01,0x5f,0x01,0x01]
// W64-ERR: :[[@LINE-2]]:29: error: invalid operand for instruction

v_sub_co_ci_u32_e64_dpp v5, ttmp15, v1, v2, ttmp15 row_xmask:0 row_mask:0x1 bank_mask:0x3 bound_ctrl:1 fi:0
// W32: v_sub_co_ci_u32_e64_dpp v5, ttmp15, v1, v2, ttmp15 row_xmask:0 row_mask:0x1 bank_mask:0x3 bound_ctrl:1 ; encoding: [0x05,0x7b,0x21,0xd5,0xfa,0x04,0xee,0x01,0x01,0x60,0x09,0x13]
// W64-ERR: :[[@LINE-2]]:29: error: invalid operand for instruction

v_sub_co_ci_u32_e64_dpp v5, s[12:13], v1, v2, s[6:7] quad_perm:[3,2,1,0]
// W32-ERR: :[[@LINE-1]]:29: error: invalid operand for instruction
// W64: v_sub_co_ci_u32_e64_dpp v5, s[12:13], v1, v2, s[6:7] quad_perm:[3,2,1,0] row_mask:0xf bank_mask:0xf ; encoding: [0x05,0x0c,0x21,0xd5,0xfa,0x04,0x1a,0x00,0x01,0x1b,0x00,0xff]

v_sub_co_ci_u32_e64_dpp v5, s[12:13], v1, v2, s[6:7] quad_perm:[0,1,2,3]
// W32-ERR: :[[@LINE-1]]:29: error: invalid operand for instruction
// W64: v_sub_co_ci_u32_e64_dpp v5, s[12:13], v1, v2, s[6:7] quad_perm:[0,1,2,3] row_mask:0xf bank_mask:0xf ; encoding: [0x05,0x0c,0x21,0xd5,0xfa,0x04,0x1a,0x00,0x01,0xe4,0x00,0xff]

v_sub_co_ci_u32_e64_dpp v5, s[12:13], v1, v2, s[6:7] row_mirror
// W32-ERR: :[[@LINE-1]]:29: error: invalid operand for instruction
// W64: v_sub_co_ci_u32_e64_dpp v5, s[12:13], v1, v2, s[6:7] row_mirror row_mask:0xf bank_mask:0xf ; encoding: [0x05,0x0c,0x21,0xd5,0xfa,0x04,0x1a,0x00,0x01,0x40,0x01,0xff]

v_sub_co_ci_u32_e64_dpp v5, s[12:13], v1, v2, s[6:7] row_half_mirror
// W32-ERR: :[[@LINE-1]]:29: error: invalid operand for instruction
// W64: v_sub_co_ci_u32_e64_dpp v5, s[12:13], v1, v2, s[6:7] row_half_mirror row_mask:0xf bank_mask:0xf ; encoding: [0x05,0x0c,0x21,0xd5,0xfa,0x04,0x1a,0x00,0x01,0x41,0x01,0xff]

v_sub_co_ci_u32_e64_dpp v5, s[12:13], v1, v2, s[6:7] row_shl:1
// W32-ERR: :[[@LINE-1]]:29: error: invalid operand for instruction
// W64: v_sub_co_ci_u32_e64_dpp v5, s[12:13], v1, v2, s[6:7] row_shl:1 row_mask:0xf bank_mask:0xf ; encoding: [0x05,0x0c,0x21,0xd5,0xfa,0x04,0x1a,0x00,0x01,0x01,0x01,0xff]

v_sub_co_ci_u32_e64_dpp v5, s[12:13], v1, v2, s[6:7] row_shl:15
// W32-ERR: :[[@LINE-1]]:29: error: invalid operand for instruction
// W64: v_sub_co_ci_u32_e64_dpp v5, s[12:13], v1, v2, s[6:7] row_shl:15 row_mask:0xf bank_mask:0xf ; encoding: [0x05,0x0c,0x21,0xd5,0xfa,0x04,0x1a,0x00,0x01,0x0f,0x01,0xff]

v_sub_co_ci_u32_e64_dpp v5, s[12:13], v1, v2, s[6:7] row_shr:1
// W32-ERR: :[[@LINE-1]]:29: error: invalid operand for instruction
// W64: v_sub_co_ci_u32_e64_dpp v5, s[12:13], v1, v2, s[6:7] row_shr:1 row_mask:0xf bank_mask:0xf ; encoding: [0x05,0x0c,0x21,0xd5,0xfa,0x04,0x1a,0x00,0x01,0x11,0x01,0xff]

v_sub_co_ci_u32_e64_dpp v5, s[12:13], v1, v2, s[6:7] row_shr:15
// W32-ERR: :[[@LINE-1]]:29: error: invalid operand for instruction
// W64: v_sub_co_ci_u32_e64_dpp v5, s[12:13], v1, v2, s[6:7] row_shr:15 row_mask:0xf bank_mask:0xf ; encoding: [0x05,0x0c,0x21,0xd5,0xfa,0x04,0x1a,0x00,0x01,0x1f,0x01,0xff]

v_sub_co_ci_u32_e64_dpp v5, s[12:13], v1, v2, s[6:7] row_ror:1
// W32-ERR: :[[@LINE-1]]:29: error: invalid operand for instruction
// W64: v_sub_co_ci_u32_e64_dpp v5, s[12:13], v1, v2, s[6:7] row_ror:1 row_mask:0xf bank_mask:0xf ; encoding: [0x05,0x0c,0x21,0xd5,0xfa,0x04,0x1a,0x00,0x01,0x21,0x01,0xff]

v_sub_co_ci_u32_e64_dpp v5, s[12:13], v1, v2, s[6:7] row_ror:15
// W32-ERR: :[[@LINE-1]]:29: error: invalid operand for instruction
// W64: v_sub_co_ci_u32_e64_dpp v5, s[12:13], v1, v2, s[6:7] row_ror:15 row_mask:0xf bank_mask:0xf ; encoding: [0x05,0x0c,0x21,0xd5,0xfa,0x04,0x1a,0x00,0x01,0x2f,0x01,0xff]

v_sub_co_ci_u32_e64_dpp v5, s[104:105], v1, v2, s[104:105] row_share:0 row_mask:0xf bank_mask:0xf
// W32-ERR: :[[@LINE-1]]:29: error: invalid operand for instruction
// W64: v_sub_co_ci_u32_e64_dpp v5, s[104:105], v1, v2, s[104:105] row_share:0 row_mask:0xf bank_mask:0xf ; encoding: [0x05,0x68,0x21,0xd5,0xfa,0x04,0xa2,0x01,0x01,0x50,0x01,0xff]

v_sub_co_ci_u32_e64_dpp v5, vcc, v1, v2, vcc row_share:15 row_mask:0x0 bank_mask:0x1
// W32-ERR: :[[@LINE-1]]:29: error: invalid operand for instruction
// W64: v_sub_co_ci_u32_e64_dpp v5, vcc, v1, v2, vcc row_share:15 row_mask:0x0 bank_mask:0x1 ; encoding: [0x05,0x6a,0x21,0xd5,0xfa,0x04,0xaa,0x01,0x01,0x5f,0x01,0x01]

v_sub_co_ci_u32_e64_dpp v5, ttmp[14:15], v1, v2, ttmp[14:15] row_xmask:0 row_mask:0x1 bank_mask:0x3 bound_ctrl:1 fi:0
// W32-ERR: :[[@LINE-1]]:29: error: invalid operand for instruction
// W64: v_sub_co_ci_u32_e64_dpp v5, ttmp[14:15], v1, v2, ttmp[14:15] row_xmask:0 row_mask:0x1 bank_mask:0x3 bound_ctrl:1 ; encoding: [0x05,0x7a,0x21,0xd5,0xfa,0x04,0xea,0x01,0x01,0x60,0x09,0x13]

v_sub_co_ci_u32_e64_dpp v255, null, v255, v255, null clamp row_xmask:15 row_mask:0x3 bank_mask:0x0 bound_ctrl:0 fi:1
// GFX12: v_sub_co_ci_u32_e64_dpp v255, null, v255, v255, null clamp row_xmask:15 row_mask:0x3 bank_mask:0x0 fi:1 ; encoding: [0xff,0xfc,0x21,0xd5,0xfa,0xfe,0xf3,0x01,0xff,0x6f,0x05,0x30]

v_sub_f16_e64_dpp v5, v1, v2 quad_perm:[3,2,1,0]
// GFX12: v_sub_f16_e64_dpp v5, v1, v2 quad_perm:[3,2,1,0] row_mask:0xf bank_mask:0xf ; encoding: [0x05,0x00,0x33,0xd5,0xfa,0x04,0x02,0x00,0x01,0x1b,0x00,0xff]

v_sub_f16_e64_dpp v5, v1, v2 quad_perm:[0,1,2,3]
// GFX12: v_sub_f16_e64_dpp v5, v1, v2 quad_perm:[0,1,2,3] row_mask:0xf bank_mask:0xf ; encoding: [0x05,0x00,0x33,0xd5,0xfa,0x04,0x02,0x00,0x01,0xe4,0x00,0xff]

v_sub_f16_e64_dpp v5, v1, v2 row_mirror
// GFX12: v_sub_f16_e64_dpp v5, v1, v2 row_mirror row_mask:0xf bank_mask:0xf ; encoding: [0x05,0x00,0x33,0xd5,0xfa,0x04,0x02,0x00,0x01,0x40,0x01,0xff]

v_sub_f16_e64_dpp v5, v1, v2 row_half_mirror
// GFX12: v_sub_f16_e64_dpp v5, v1, v2 row_half_mirror row_mask:0xf bank_mask:0xf ; encoding: [0x05,0x00,0x33,0xd5,0xfa,0x04,0x02,0x00,0x01,0x41,0x01,0xff]

v_sub_f16_e64_dpp v5, v1, v2 row_shl:1
// GFX12: v_sub_f16_e64_dpp v5, v1, v2 row_shl:1 row_mask:0xf bank_mask:0xf ; encoding: [0x05,0x00,0x33,0xd5,0xfa,0x04,0x02,0x00,0x01,0x01,0x01,0xff]

v_sub_f16_e64_dpp v5, v1, v2 row_shl:15
// GFX12: v_sub_f16_e64_dpp v5, v1, v2 row_shl:15 row_mask:0xf bank_mask:0xf ; encoding: [0x05,0x00,0x33,0xd5,0xfa,0x04,0x02,0x00,0x01,0x0f,0x01,0xff]
	;; [unrolled: 3-line block ×3, first 2 shown]

v_sub_f16_e64_dpp v5, v1, 2.0 row_shl:15
// GFX12: v_sub_f16_e64_dpp v5, v1, 2.0 row_shl:15 row_mask:0xf bank_mask:0xf ; encoding: [0x05,0x00,0x33,0xd5,0xfa,0xe8,0x01,0x00,0x01,0x0f,0x01,0xff]

v_sub_f16_e64_dpp v5, v1, v2 row_shr:1
// GFX12: v_sub_f16_e64_dpp v5, v1, v2 row_shr:1 row_mask:0xf bank_mask:0xf ; encoding: [0x05,0x00,0x33,0xd5,0xfa,0x04,0x02,0x00,0x01,0x11,0x01,0xff]

v_sub_f16_e64_dpp v5, v1, v2 row_shr:15
// GFX12: v_sub_f16_e64_dpp v5, v1, v2 row_shr:15 row_mask:0xf bank_mask:0xf ; encoding: [0x05,0x00,0x33,0xd5,0xfa,0x04,0x02,0x00,0x01,0x1f,0x01,0xff]

v_sub_f16_e64_dpp v5, v1, v2 row_ror:1
// GFX12: v_sub_f16_e64_dpp v5, v1, v2 row_ror:1 row_mask:0xf bank_mask:0xf ; encoding: [0x05,0x00,0x33,0xd5,0xfa,0x04,0x02,0x00,0x01,0x21,0x01,0xff]

v_sub_f16_e64_dpp v5, v1, v2 row_ror:15
// GFX12: v_sub_f16_e64_dpp v5, v1, v2 row_ror:15 row_mask:0xf bank_mask:0xf ; encoding: [0x05,0x00,0x33,0xd5,0xfa,0x04,0x02,0x00,0x01,0x2f,0x01,0xff]

v_sub_f16_e64_dpp v5, v1, v2 row_share:0 row_mask:0xf bank_mask:0xf
// GFX12: v_sub_f16_e64_dpp v5, v1, v2 row_share:0 row_mask:0xf bank_mask:0xf ; encoding: [0x05,0x00,0x33,0xd5,0xfa,0x04,0x02,0x00,0x01,0x50,0x01,0xff]

v_sub_f16_e64_dpp v5, |v1|, -v2 mul:2 row_share:15 row_mask:0x0 bank_mask:0x1
// GFX12: v_sub_f16_e64_dpp v5, |v1|, -v2 mul:2 row_share:15 row_mask:0x0 bank_mask:0x1 ; encoding: [0x05,0x01,0x33,0xd5,0xfa,0x04,0x02,0x48,0x01,0x5f,0x01,0x01]

v_sub_f16_e64_dpp v5, -v1, |v2| mul:4 row_xmask:0 row_mask:0x1 bank_mask:0x3 bound_ctrl:1 fi:0
// GFX12: v_sub_f16_e64_dpp v5, -v1, |v2| mul:4 row_xmask:0 row_mask:0x1 bank_mask:0x3 bound_ctrl:1 ; encoding: [0x05,0x02,0x33,0xd5,0xfa,0x04,0x02,0x30,0x01,0x60,0x09,0x13]

v_sub_f16_e64_dpp v255, -|v255|, -|v255| clamp div:2 row_xmask:15 row_mask:0x3 bank_mask:0x0 bound_ctrl:0 fi:1
// GFX12: v_sub_f16_e64_dpp v255, -|v255|, -|v255| clamp div:2 row_xmask:15 row_mask:0x3 bank_mask:0x0 fi:1 ; encoding: [0xff,0x83,0x33,0xd5,0xfa,0xfe,0x03,0x78,0xff,0x6f,0x05,0x30]

v_sub_f32_e64_dpp v5, v1, v2 quad_perm:[3,2,1,0]
// GFX12: v_sub_f32_e64_dpp v5, v1, v2 quad_perm:[3,2,1,0] row_mask:0xf bank_mask:0xf ; encoding: [0x05,0x00,0x04,0xd5,0xfa,0x04,0x02,0x00,0x01,0x1b,0x00,0xff]

v_sub_f32_e64_dpp v5, v1, v2 quad_perm:[0,1,2,3]
// GFX12: v_sub_f32_e64_dpp v5, v1, v2 quad_perm:[0,1,2,3] row_mask:0xf bank_mask:0xf ; encoding: [0x05,0x00,0x04,0xd5,0xfa,0x04,0x02,0x00,0x01,0xe4,0x00,0xff]

v_sub_f32_e64_dpp v5, v1, v2 row_mirror
// GFX12: v_sub_f32_e64_dpp v5, v1, v2 row_mirror row_mask:0xf bank_mask:0xf ; encoding: [0x05,0x00,0x04,0xd5,0xfa,0x04,0x02,0x00,0x01,0x40,0x01,0xff]

v_sub_f32_e64_dpp v5, v1, v2 row_half_mirror
// GFX12: v_sub_f32_e64_dpp v5, v1, v2 row_half_mirror row_mask:0xf bank_mask:0xf ; encoding: [0x05,0x00,0x04,0xd5,0xfa,0x04,0x02,0x00,0x01,0x41,0x01,0xff]

v_sub_f32_e64_dpp v5, v1, v2 row_shl:1
// GFX12: v_sub_f32_e64_dpp v5, v1, v2 row_shl:1 row_mask:0xf bank_mask:0xf ; encoding: [0x05,0x00,0x04,0xd5,0xfa,0x04,0x02,0x00,0x01,0x01,0x01,0xff]

v_sub_f32_e64_dpp v5, v1, v2 row_shl:15
// GFX12: v_sub_f32_e64_dpp v5, v1, v2 row_shl:15 row_mask:0xf bank_mask:0xf ; encoding: [0x05,0x00,0x04,0xd5,0xfa,0x04,0x02,0x00,0x01,0x0f,0x01,0xff]
	;; [unrolled: 3-line block ×3, first 2 shown]

v_sub_f32_e64_dpp v5, v1, 2.0 row_shl:15
// GFX12: v_sub_f32_e64_dpp v5, v1, 2.0 row_shl:15 row_mask:0xf bank_mask:0xf ; encoding: [0x05,0x00,0x04,0xd5,0xfa,0xe8,0x01,0x00,0x01,0x0f,0x01,0xff]

v_sub_f32_e64_dpp v5, v1, v2 row_shr:1
// GFX12: v_sub_f32_e64_dpp v5, v1, v2 row_shr:1 row_mask:0xf bank_mask:0xf ; encoding: [0x05,0x00,0x04,0xd5,0xfa,0x04,0x02,0x00,0x01,0x11,0x01,0xff]

v_sub_f32_e64_dpp v5, v1, v2 row_shr:15
// GFX12: v_sub_f32_e64_dpp v5, v1, v2 row_shr:15 row_mask:0xf bank_mask:0xf ; encoding: [0x05,0x00,0x04,0xd5,0xfa,0x04,0x02,0x00,0x01,0x1f,0x01,0xff]

v_sub_f32_e64_dpp v5, v1, v2 row_ror:1
// GFX12: v_sub_f32_e64_dpp v5, v1, v2 row_ror:1 row_mask:0xf bank_mask:0xf ; encoding: [0x05,0x00,0x04,0xd5,0xfa,0x04,0x02,0x00,0x01,0x21,0x01,0xff]

v_sub_f32_e64_dpp v5, v1, v2 row_ror:15
// GFX12: v_sub_f32_e64_dpp v5, v1, v2 row_ror:15 row_mask:0xf bank_mask:0xf ; encoding: [0x05,0x00,0x04,0xd5,0xfa,0x04,0x02,0x00,0x01,0x2f,0x01,0xff]

v_sub_f32_e64_dpp v5, v1, v2 row_share:0 row_mask:0xf bank_mask:0xf
// GFX12: v_sub_f32_e64_dpp v5, v1, v2 row_share:0 row_mask:0xf bank_mask:0xf ; encoding: [0x05,0x00,0x04,0xd5,0xfa,0x04,0x02,0x00,0x01,0x50,0x01,0xff]

v_sub_f32_e64_dpp v5, |v1|, -v2 mul:2 row_share:15 row_mask:0x0 bank_mask:0x1
// GFX12: v_sub_f32_e64_dpp v5, |v1|, -v2 mul:2 row_share:15 row_mask:0x0 bank_mask:0x1 ; encoding: [0x05,0x01,0x04,0xd5,0xfa,0x04,0x02,0x48,0x01,0x5f,0x01,0x01]

v_sub_f32_e64_dpp v5, -v1, |v2| mul:4 row_xmask:0 row_mask:0x1 bank_mask:0x3 bound_ctrl:1 fi:0
// GFX12: v_sub_f32_e64_dpp v5, -v1, |v2| mul:4 row_xmask:0 row_mask:0x1 bank_mask:0x3 bound_ctrl:1 ; encoding: [0x05,0x02,0x04,0xd5,0xfa,0x04,0x02,0x30,0x01,0x60,0x09,0x13]

v_sub_f32_e64_dpp v255, -|v255|, -|v255| clamp div:2 row_xmask:15 row_mask:0x3 bank_mask:0x0 bound_ctrl:0 fi:1
// GFX12: v_sub_f32_e64_dpp v255, -|v255|, -|v255| clamp div:2 row_xmask:15 row_mask:0x3 bank_mask:0x0 fi:1 ; encoding: [0xff,0x83,0x04,0xd5,0xfa,0xfe,0x03,0x78,0xff,0x6f,0x05,0x30]

v_sub_nc_u32_e64_dpp v5, v1, v2 quad_perm:[3,2,1,0]
// GFX12: v_sub_nc_u32_e64_dpp v5, v1, v2 quad_perm:[3,2,1,0] row_mask:0xf bank_mask:0xf ; encoding: [0x05,0x00,0x26,0xd5,0xfa,0x04,0x02,0x00,0x01,0x1b,0x00,0xff]

v_sub_nc_u32_e64_dpp v5, v1, v2 quad_perm:[0,1,2,3]
// GFX12: v_sub_nc_u32_e64_dpp v5, v1, v2 quad_perm:[0,1,2,3] row_mask:0xf bank_mask:0xf ; encoding: [0x05,0x00,0x26,0xd5,0xfa,0x04,0x02,0x00,0x01,0xe4,0x00,0xff]

v_sub_nc_u32_e64_dpp v5, v1, v2 row_mirror
// GFX12: v_sub_nc_u32_e64_dpp v5, v1, v2 row_mirror row_mask:0xf bank_mask:0xf ; encoding: [0x05,0x00,0x26,0xd5,0xfa,0x04,0x02,0x00,0x01,0x40,0x01,0xff]

v_sub_nc_u32_e64_dpp v5, v1, v2 row_half_mirror
// GFX12: v_sub_nc_u32_e64_dpp v5, v1, v2 row_half_mirror row_mask:0xf bank_mask:0xf ; encoding: [0x05,0x00,0x26,0xd5,0xfa,0x04,0x02,0x00,0x01,0x41,0x01,0xff]

v_sub_nc_u32_e64_dpp v5, v1, v2 row_shl:1
// GFX12: v_sub_nc_u32_e64_dpp v5, v1, v2 row_shl:1 row_mask:0xf bank_mask:0xf ; encoding: [0x05,0x00,0x26,0xd5,0xfa,0x04,0x02,0x00,0x01,0x01,0x01,0xff]

v_sub_nc_u32_e64_dpp v5, v1, v2 row_shl:15
// GFX12: v_sub_nc_u32_e64_dpp v5, v1, v2 row_shl:15 row_mask:0xf bank_mask:0xf ; encoding: [0x05,0x00,0x26,0xd5,0xfa,0x04,0x02,0x00,0x01,0x0f,0x01,0xff]
	;; [unrolled: 3-line block ×4, first 2 shown]

v_sub_nc_u32_e64_dpp v5, v1, v2 row_shr:1
// GFX12: v_sub_nc_u32_e64_dpp v5, v1, v2 row_shr:1 row_mask:0xf bank_mask:0xf ; encoding: [0x05,0x00,0x26,0xd5,0xfa,0x04,0x02,0x00,0x01,0x11,0x01,0xff]

v_sub_nc_u32_e64_dpp v5, v1, v2 row_shr:15
// GFX12: v_sub_nc_u32_e64_dpp v5, v1, v2 row_shr:15 row_mask:0xf bank_mask:0xf ; encoding: [0x05,0x00,0x26,0xd5,0xfa,0x04,0x02,0x00,0x01,0x1f,0x01,0xff]

v_sub_nc_u32_e64_dpp v5, v1, v2 row_ror:1
// GFX12: v_sub_nc_u32_e64_dpp v5, v1, v2 row_ror:1 row_mask:0xf bank_mask:0xf ; encoding: [0x05,0x00,0x26,0xd5,0xfa,0x04,0x02,0x00,0x01,0x21,0x01,0xff]

v_sub_nc_u32_e64_dpp v5, v1, v2 row_ror:15
// GFX12: v_sub_nc_u32_e64_dpp v5, v1, v2 row_ror:15 row_mask:0xf bank_mask:0xf ; encoding: [0x05,0x00,0x26,0xd5,0xfa,0x04,0x02,0x00,0x01,0x2f,0x01,0xff]

v_sub_nc_u32_e64_dpp v5, v1, v2 row_share:0 row_mask:0xf bank_mask:0xf
// GFX12: v_sub_nc_u32_e64_dpp v5, v1, v2 row_share:0 row_mask:0xf bank_mask:0xf ; encoding: [0x05,0x00,0x26,0xd5,0xfa,0x04,0x02,0x00,0x01,0x50,0x01,0xff]

v_sub_nc_u32_e64_dpp v5, v1, v2 row_share:15 row_mask:0x0 bank_mask:0x1
// GFX12: v_sub_nc_u32_e64_dpp v5, v1, v2 row_share:15 row_mask:0x0 bank_mask:0x1 ; encoding: [0x05,0x00,0x26,0xd5,0xfa,0x04,0x02,0x00,0x01,0x5f,0x01,0x01]

v_sub_nc_u32_e64_dpp v5, v1, v2 row_xmask:0 row_mask:0x1 bank_mask:0x3 bound_ctrl:1 fi:0
// GFX12: v_sub_nc_u32_e64_dpp v5, v1, v2 row_xmask:0 row_mask:0x1 bank_mask:0x3 bound_ctrl:1 ; encoding: [0x05,0x00,0x26,0xd5,0xfa,0x04,0x02,0x00,0x01,0x60,0x09,0x13]

v_sub_nc_u32_e64_dpp v255, v255, v255 clamp row_xmask:15 row_mask:0x3 bank_mask:0x0 bound_ctrl:0 fi:1
// GFX12: v_sub_nc_u32_e64_dpp v255, v255, v255 clamp row_xmask:15 row_mask:0x3 bank_mask:0x0 fi:1 ; encoding: [0xff,0x80,0x26,0xd5,0xfa,0xfe,0x03,0x00,0xff,0x6f,0x05,0x30]

v_subrev_co_ci_u32_e64_dpp v5, s6, v1, v2, s3 quad_perm:[3,2,1,0]
// W32: v_subrev_co_ci_u32_e64_dpp v5, s6, v1, v2, s3 quad_perm:[3,2,1,0] row_mask:0xf bank_mask:0xf ; encoding: [0x05,0x06,0x22,0xd5,0xfa,0x04,0x0e,0x00,0x01,0x1b,0x00,0xff]
// W64-ERR: :[[@LINE-2]]:32: error: invalid operand for instruction

v_subrev_co_ci_u32_e64_dpp v5, s6, v1, v2, s3 quad_perm:[0,1,2,3]
// W32: v_subrev_co_ci_u32_e64_dpp v5, s6, v1, v2, s3 quad_perm:[0,1,2,3] row_mask:0xf bank_mask:0xf ; encoding: [0x05,0x06,0x22,0xd5,0xfa,0x04,0x0e,0x00,0x01,0xe4,0x00,0xff]
// W64-ERR: :[[@LINE-2]]:32: error: invalid operand for instruction

v_subrev_co_ci_u32_e64_dpp v5, s6, v1, v2, s3 row_mirror
// W32: v_subrev_co_ci_u32_e64_dpp v5, s6, v1, v2, s3 row_mirror row_mask:0xf bank_mask:0xf ; encoding: [0x05,0x06,0x22,0xd5,0xfa,0x04,0x0e,0x00,0x01,0x40,0x01,0xff]
// W64-ERR: :[[@LINE-2]]:32: error: invalid operand for instruction

v_subrev_co_ci_u32_e64_dpp v5, s6, v1, v2, s3 row_half_mirror
// W32: v_subrev_co_ci_u32_e64_dpp v5, s6, v1, v2, s3 row_half_mirror row_mask:0xf bank_mask:0xf ; encoding: [0x05,0x06,0x22,0xd5,0xfa,0x04,0x0e,0x00,0x01,0x41,0x01,0xff]
// W64-ERR: :[[@LINE-2]]:32: error: invalid operand for instruction

v_subrev_co_ci_u32_e64_dpp v5, s6, v1, v2, s3 row_shl:1
// W32: v_subrev_co_ci_u32_e64_dpp v5, s6, v1, v2, s3 row_shl:1 row_mask:0xf bank_mask:0xf ; encoding: [0x05,0x06,0x22,0xd5,0xfa,0x04,0x0e,0x00,0x01,0x01,0x01,0xff]
// W64-ERR: :[[@LINE-2]]:32: error: invalid operand for instruction

v_subrev_co_ci_u32_e64_dpp v5, s6, v1, v2, s3 row_shl:15
// W32: v_subrev_co_ci_u32_e64_dpp v5, s6, v1, v2, s3 row_shl:15 row_mask:0xf bank_mask:0xf ; encoding: [0x05,0x06,0x22,0xd5,0xfa,0x04,0x0e,0x00,0x01,0x0f,0x01,0xff]
// W64-ERR: :[[@LINE-2]]:32: error: invalid operand for instruction

v_subrev_co_ci_u32_e64_dpp v5, s6, v1, v2, s3 row_shr:1
// W32: v_subrev_co_ci_u32_e64_dpp v5, s6, v1, v2, s3 row_shr:1 row_mask:0xf bank_mask:0xf ; encoding: [0x05,0x06,0x22,0xd5,0xfa,0x04,0x0e,0x00,0x01,0x11,0x01,0xff]
// W64-ERR: :[[@LINE-2]]:32: error: invalid operand for instruction

v_subrev_co_ci_u32_e64_dpp v5, s6, v1, v2, s3 row_shr:15
// W32: v_subrev_co_ci_u32_e64_dpp v5, s6, v1, v2, s3 row_shr:15 row_mask:0xf bank_mask:0xf ; encoding: [0x05,0x06,0x22,0xd5,0xfa,0x04,0x0e,0x00,0x01,0x1f,0x01,0xff]
// W64-ERR: :[[@LINE-2]]:32: error: invalid operand for instruction

v_subrev_co_ci_u32_e64_dpp v5, s6, v1, v2, s3 row_ror:1
// W32: v_subrev_co_ci_u32_e64_dpp v5, s6, v1, v2, s3 row_ror:1 row_mask:0xf bank_mask:0xf ; encoding: [0x05,0x06,0x22,0xd5,0xfa,0x04,0x0e,0x00,0x01,0x21,0x01,0xff]
// W64-ERR: :[[@LINE-2]]:32: error: invalid operand for instruction

v_subrev_co_ci_u32_e64_dpp v5, s105, v1, v2, s105 row_ror:15
// W32: v_subrev_co_ci_u32_e64_dpp v5, s105, v1, v2, s105 row_ror:15 row_mask:0xf bank_mask:0xf ; encoding: [0x05,0x69,0x22,0xd5,0xfa,0x04,0xa6,0x01,0x01,0x2f,0x01,0xff]
// W64-ERR: :[[@LINE-2]]:32: error: invalid operand for instruction

v_subrev_co_ci_u32_e64_dpp v5, vcc_lo, v1, v2, vcc_hi row_share:0 row_mask:0xf bank_mask:0xf
// W32: v_subrev_co_ci_u32_e64_dpp v5, vcc_lo, v1, v2, vcc_hi row_share:0 row_mask:0xf bank_mask:0xf ; encoding: [0x05,0x6a,0x22,0xd5,0xfa,0x04,0xae,0x01,0x01,0x50,0x01,0xff]
// W64-ERR: :[[@LINE-2]]:32: error: invalid operand for instruction

v_subrev_co_ci_u32_e64_dpp v5, vcc_hi, v1, v2, vcc_lo row_share:15 row_mask:0x0 bank_mask:0x1
// W32: v_subrev_co_ci_u32_e64_dpp v5, vcc_hi, v1, v2, vcc_lo row_share:15 row_mask:0x0 bank_mask:0x1 ; encoding: [0x05,0x6b,0x22,0xd5,0xfa,0x04,0xaa,0x01,0x01,0x5f,0x01,0x01]
// W64-ERR: :[[@LINE-2]]:32: error: invalid operand for instruction

v_subrev_co_ci_u32_e64_dpp v5, ttmp15, v1, v2, ttmp15 row_xmask:0 row_mask:0x1 bank_mask:0x3 bound_ctrl:1 fi:0
// W32: v_subrev_co_ci_u32_e64_dpp v5, ttmp15, v1, v2, ttmp15 row_xmask:0 row_mask:0x1 bank_mask:0x3 bound_ctrl:1 ; encoding: [0x05,0x7b,0x22,0xd5,0xfa,0x04,0xee,0x01,0x01,0x60,0x09,0x13]
// W64-ERR: :[[@LINE-2]]:32: error: invalid operand for instruction

v_subrev_co_ci_u32_e64_dpp v5, s[12:13], v1, v2, s[6:7] quad_perm:[3,2,1,0]
// W32-ERR: :[[@LINE-1]]:32: error: invalid operand for instruction
// W64: v_subrev_co_ci_u32_e64_dpp v5, s[12:13], v1, v2, s[6:7] quad_perm:[3,2,1,0] row_mask:0xf bank_mask:0xf ; encoding: [0x05,0x0c,0x22,0xd5,0xfa,0x04,0x1a,0x00,0x01,0x1b,0x00,0xff]

v_subrev_co_ci_u32_e64_dpp v5, s[12:13], v1, v2, s[6:7] quad_perm:[0,1,2,3]
// W32-ERR: :[[@LINE-1]]:32: error: invalid operand for instruction
// W64: v_subrev_co_ci_u32_e64_dpp v5, s[12:13], v1, v2, s[6:7] quad_perm:[0,1,2,3] row_mask:0xf bank_mask:0xf ; encoding: [0x05,0x0c,0x22,0xd5,0xfa,0x04,0x1a,0x00,0x01,0xe4,0x00,0xff]

v_subrev_co_ci_u32_e64_dpp v5, s[12:13], v1, v2, s[6:7] row_mirror
// W32-ERR: :[[@LINE-1]]:32: error: invalid operand for instruction
// W64: v_subrev_co_ci_u32_e64_dpp v5, s[12:13], v1, v2, s[6:7] row_mirror row_mask:0xf bank_mask:0xf ; encoding: [0x05,0x0c,0x22,0xd5,0xfa,0x04,0x1a,0x00,0x01,0x40,0x01,0xff]

v_subrev_co_ci_u32_e64_dpp v5, s[12:13], v1, v2, s[6:7] row_half_mirror
// W32-ERR: :[[@LINE-1]]:32: error: invalid operand for instruction
// W64: v_subrev_co_ci_u32_e64_dpp v5, s[12:13], v1, v2, s[6:7] row_half_mirror row_mask:0xf bank_mask:0xf ; encoding: [0x05,0x0c,0x22,0xd5,0xfa,0x04,0x1a,0x00,0x01,0x41,0x01,0xff]

v_subrev_co_ci_u32_e64_dpp v5, s[12:13], v1, v2, s[6:7] row_shl:1
// W32-ERR: :[[@LINE-1]]:32: error: invalid operand for instruction
// W64: v_subrev_co_ci_u32_e64_dpp v5, s[12:13], v1, v2, s[6:7] row_shl:1 row_mask:0xf bank_mask:0xf ; encoding: [0x05,0x0c,0x22,0xd5,0xfa,0x04,0x1a,0x00,0x01,0x01,0x01,0xff]

v_subrev_co_ci_u32_e64_dpp v5, s[12:13], v1, v2, s[6:7] row_shl:15
// W32-ERR: :[[@LINE-1]]:32: error: invalid operand for instruction
// W64: v_subrev_co_ci_u32_e64_dpp v5, s[12:13], v1, v2, s[6:7] row_shl:15 row_mask:0xf bank_mask:0xf ; encoding: [0x05,0x0c,0x22,0xd5,0xfa,0x04,0x1a,0x00,0x01,0x0f,0x01,0xff]

v_subrev_co_ci_u32_e64_dpp v5, s[12:13], v1, v2, s[6:7] row_shr:1
// W32-ERR: :[[@LINE-1]]:32: error: invalid operand for instruction
// W64: v_subrev_co_ci_u32_e64_dpp v5, s[12:13], v1, v2, s[6:7] row_shr:1 row_mask:0xf bank_mask:0xf ; encoding: [0x05,0x0c,0x22,0xd5,0xfa,0x04,0x1a,0x00,0x01,0x11,0x01,0xff]

v_subrev_co_ci_u32_e64_dpp v5, s[12:13], v1, v2, s[6:7] row_shr:15
// W32-ERR: :[[@LINE-1]]:32: error: invalid operand for instruction
// W64: v_subrev_co_ci_u32_e64_dpp v5, s[12:13], v1, v2, s[6:7] row_shr:15 row_mask:0xf bank_mask:0xf ; encoding: [0x05,0x0c,0x22,0xd5,0xfa,0x04,0x1a,0x00,0x01,0x1f,0x01,0xff]

v_subrev_co_ci_u32_e64_dpp v5, s[12:13], v1, v2, s[6:7] row_ror:1
// W32-ERR: :[[@LINE-1]]:32: error: invalid operand for instruction
// W64: v_subrev_co_ci_u32_e64_dpp v5, s[12:13], v1, v2, s[6:7] row_ror:1 row_mask:0xf bank_mask:0xf ; encoding: [0x05,0x0c,0x22,0xd5,0xfa,0x04,0x1a,0x00,0x01,0x21,0x01,0xff]

v_subrev_co_ci_u32_e64_dpp v5, s[12:13], v1, v2, s[6:7] row_ror:15
// W32-ERR: :[[@LINE-1]]:32: error: invalid operand for instruction
// W64: v_subrev_co_ci_u32_e64_dpp v5, s[12:13], v1, v2, s[6:7] row_ror:15 row_mask:0xf bank_mask:0xf ; encoding: [0x05,0x0c,0x22,0xd5,0xfa,0x04,0x1a,0x00,0x01,0x2f,0x01,0xff]

v_subrev_co_ci_u32_e64_dpp v5, s[104:105], v1, v2, s[104:105] row_share:0 row_mask:0xf bank_mask:0xf
// W32-ERR: :[[@LINE-1]]:32: error: invalid operand for instruction
// W64: v_subrev_co_ci_u32_e64_dpp v5, s[104:105], v1, v2, s[104:105] row_share:0 row_mask:0xf bank_mask:0xf ; encoding: [0x05,0x68,0x22,0xd5,0xfa,0x04,0xa2,0x01,0x01,0x50,0x01,0xff]

v_subrev_co_ci_u32_e64_dpp v5, vcc, v1, v2, vcc row_share:15 row_mask:0x0 bank_mask:0x1
// W32-ERR: :[[@LINE-1]]:32: error: invalid operand for instruction
// W64: v_subrev_co_ci_u32_e64_dpp v5, vcc, v1, v2, vcc row_share:15 row_mask:0x0 bank_mask:0x1 ; encoding: [0x05,0x6a,0x22,0xd5,0xfa,0x04,0xaa,0x01,0x01,0x5f,0x01,0x01]

v_subrev_co_ci_u32_e64_dpp v5, ttmp[14:15], v1, v2, ttmp[14:15] row_xmask:0 row_mask:0x1 bank_mask:0x3 bound_ctrl:1 fi:0
// W32-ERR: :[[@LINE-1]]:32: error: invalid operand for instruction
// W64: v_subrev_co_ci_u32_e64_dpp v5, ttmp[14:15], v1, v2, ttmp[14:15] row_xmask:0 row_mask:0x1 bank_mask:0x3 bound_ctrl:1 ; encoding: [0x05,0x7a,0x22,0xd5,0xfa,0x04,0xea,0x01,0x01,0x60,0x09,0x13]

v_subrev_co_ci_u32_e64_dpp v255, null, v255, v255, null clamp row_xmask:15 row_mask:0x3 bank_mask:0x0 bound_ctrl:0 fi:1
// GFX12: v_subrev_co_ci_u32_e64_dpp v255, null, v255, v255, null clamp row_xmask:15 row_mask:0x3 bank_mask:0x0 fi:1 ; encoding: [0xff,0xfc,0x22,0xd5,0xfa,0xfe,0xf3,0x01,0xff,0x6f,0x05,0x30]

v_subrev_f16_e64_dpp v5, v1, v2 quad_perm:[3,2,1,0]
// GFX12: v_subrev_f16_e64_dpp v5, v1, v2 quad_perm:[3,2,1,0] row_mask:0xf bank_mask:0xf ; encoding: [0x05,0x00,0x34,0xd5,0xfa,0x04,0x02,0x00,0x01,0x1b,0x00,0xff]

v_subrev_f16_e64_dpp v5, v1, v2 quad_perm:[0,1,2,3]
// GFX12: v_subrev_f16_e64_dpp v5, v1, v2 quad_perm:[0,1,2,3] row_mask:0xf bank_mask:0xf ; encoding: [0x05,0x00,0x34,0xd5,0xfa,0x04,0x02,0x00,0x01,0xe4,0x00,0xff]

v_subrev_f16_e64_dpp v5, v1, v2 row_mirror
// GFX12: v_subrev_f16_e64_dpp v5, v1, v2 row_mirror row_mask:0xf bank_mask:0xf ; encoding: [0x05,0x00,0x34,0xd5,0xfa,0x04,0x02,0x00,0x01,0x40,0x01,0xff]

v_subrev_f16_e64_dpp v5, v1, v2 row_half_mirror
// GFX12: v_subrev_f16_e64_dpp v5, v1, v2 row_half_mirror row_mask:0xf bank_mask:0xf ; encoding: [0x05,0x00,0x34,0xd5,0xfa,0x04,0x02,0x00,0x01,0x41,0x01,0xff]

v_subrev_f16_e64_dpp v5, v1, v2 row_shl:1
// GFX12: v_subrev_f16_e64_dpp v5, v1, v2 row_shl:1 row_mask:0xf bank_mask:0xf ; encoding: [0x05,0x00,0x34,0xd5,0xfa,0x04,0x02,0x00,0x01,0x01,0x01,0xff]

v_subrev_f16_e64_dpp v5, v1, v2 row_shl:15
// GFX12: v_subrev_f16_e64_dpp v5, v1, v2 row_shl:15 row_mask:0xf bank_mask:0xf ; encoding: [0x05,0x00,0x34,0xd5,0xfa,0x04,0x02,0x00,0x01,0x0f,0x01,0xff]
	;; [unrolled: 3-line block ×3, first 2 shown]

v_subrev_f16_e64_dpp v5, v1, 2.0 row_shl:15
// GFX12: v_subrev_f16_e64_dpp v5, v1, 2.0 row_shl:15 row_mask:0xf bank_mask:0xf ; encoding: [0x05,0x00,0x34,0xd5,0xfa,0xe8,0x01,0x00,0x01,0x0f,0x01,0xff]

v_subrev_f16_e64_dpp v5, v1, v2 row_shr:1
// GFX12: v_subrev_f16_e64_dpp v5, v1, v2 row_shr:1 row_mask:0xf bank_mask:0xf ; encoding: [0x05,0x00,0x34,0xd5,0xfa,0x04,0x02,0x00,0x01,0x11,0x01,0xff]

v_subrev_f16_e64_dpp v5, v1, v2 row_shr:15
// GFX12: v_subrev_f16_e64_dpp v5, v1, v2 row_shr:15 row_mask:0xf bank_mask:0xf ; encoding: [0x05,0x00,0x34,0xd5,0xfa,0x04,0x02,0x00,0x01,0x1f,0x01,0xff]

v_subrev_f16_e64_dpp v5, v1, v2 row_ror:1
// GFX12: v_subrev_f16_e64_dpp v5, v1, v2 row_ror:1 row_mask:0xf bank_mask:0xf ; encoding: [0x05,0x00,0x34,0xd5,0xfa,0x04,0x02,0x00,0x01,0x21,0x01,0xff]

v_subrev_f16_e64_dpp v5, v1, v2 row_ror:15
// GFX12: v_subrev_f16_e64_dpp v5, v1, v2 row_ror:15 row_mask:0xf bank_mask:0xf ; encoding: [0x05,0x00,0x34,0xd5,0xfa,0x04,0x02,0x00,0x01,0x2f,0x01,0xff]

v_subrev_f16_e64_dpp v5, v1, v2 row_share:0 row_mask:0xf bank_mask:0xf
// GFX12: v_subrev_f16_e64_dpp v5, v1, v2 row_share:0 row_mask:0xf bank_mask:0xf ; encoding: [0x05,0x00,0x34,0xd5,0xfa,0x04,0x02,0x00,0x01,0x50,0x01,0xff]

v_subrev_f16_e64_dpp v5, |v1|, -v2 mul:2 row_share:15 row_mask:0x0 bank_mask:0x1
// GFX12: v_subrev_f16_e64_dpp v5, |v1|, -v2 mul:2 row_share:15 row_mask:0x0 bank_mask:0x1 ; encoding: [0x05,0x01,0x34,0xd5,0xfa,0x04,0x02,0x48,0x01,0x5f,0x01,0x01]

v_subrev_f16_e64_dpp v5, -v1, |v2| mul:4 row_xmask:0 row_mask:0x1 bank_mask:0x3 bound_ctrl:1 fi:0
// GFX12: v_subrev_f16_e64_dpp v5, -v1, |v2| mul:4 row_xmask:0 row_mask:0x1 bank_mask:0x3 bound_ctrl:1 ; encoding: [0x05,0x02,0x34,0xd5,0xfa,0x04,0x02,0x30,0x01,0x60,0x09,0x13]

v_subrev_f16_e64_dpp v255, -|v255|, -|v255| clamp div:2 row_xmask:15 row_mask:0x3 bank_mask:0x0 bound_ctrl:0 fi:1
// GFX12: v_subrev_f16_e64_dpp v255, -|v255|, -|v255| clamp div:2 row_xmask:15 row_mask:0x3 bank_mask:0x0 fi:1 ; encoding: [0xff,0x83,0x34,0xd5,0xfa,0xfe,0x03,0x78,0xff,0x6f,0x05,0x30]

v_subrev_f32_e64_dpp v5, v1, v2 quad_perm:[3,2,1,0]
// GFX12: v_subrev_f32_e64_dpp v5, v1, v2 quad_perm:[3,2,1,0] row_mask:0xf bank_mask:0xf ; encoding: [0x05,0x00,0x05,0xd5,0xfa,0x04,0x02,0x00,0x01,0x1b,0x00,0xff]

v_subrev_f32_e64_dpp v5, v1, v2 quad_perm:[0,1,2,3]
// GFX12: v_subrev_f32_e64_dpp v5, v1, v2 quad_perm:[0,1,2,3] row_mask:0xf bank_mask:0xf ; encoding: [0x05,0x00,0x05,0xd5,0xfa,0x04,0x02,0x00,0x01,0xe4,0x00,0xff]

v_subrev_f32_e64_dpp v5, v1, v2 row_mirror
// GFX12: v_subrev_f32_e64_dpp v5, v1, v2 row_mirror row_mask:0xf bank_mask:0xf ; encoding: [0x05,0x00,0x05,0xd5,0xfa,0x04,0x02,0x00,0x01,0x40,0x01,0xff]

v_subrev_f32_e64_dpp v5, v1, v2 row_half_mirror
// GFX12: v_subrev_f32_e64_dpp v5, v1, v2 row_half_mirror row_mask:0xf bank_mask:0xf ; encoding: [0x05,0x00,0x05,0xd5,0xfa,0x04,0x02,0x00,0x01,0x41,0x01,0xff]

v_subrev_f32_e64_dpp v5, v1, v2 row_shl:1
// GFX12: v_subrev_f32_e64_dpp v5, v1, v2 row_shl:1 row_mask:0xf bank_mask:0xf ; encoding: [0x05,0x00,0x05,0xd5,0xfa,0x04,0x02,0x00,0x01,0x01,0x01,0xff]

v_subrev_f32_e64_dpp v5, v1, v2 row_shl:15
// GFX12: v_subrev_f32_e64_dpp v5, v1, v2 row_shl:15 row_mask:0xf bank_mask:0xf ; encoding: [0x05,0x00,0x05,0xd5,0xfa,0x04,0x02,0x00,0x01,0x0f,0x01,0xff]
	;; [unrolled: 3-line block ×3, first 2 shown]

v_subrev_f32_e64_dpp v5, v1, 2.0 row_shl:15
// GFX12: v_subrev_f32_e64_dpp v5, v1, 2.0 row_shl:15 row_mask:0xf bank_mask:0xf ; encoding: [0x05,0x00,0x05,0xd5,0xfa,0xe8,0x01,0x00,0x01,0x0f,0x01,0xff]

v_subrev_f32_e64_dpp v5, v1, v2 row_shr:1
// GFX12: v_subrev_f32_e64_dpp v5, v1, v2 row_shr:1 row_mask:0xf bank_mask:0xf ; encoding: [0x05,0x00,0x05,0xd5,0xfa,0x04,0x02,0x00,0x01,0x11,0x01,0xff]

v_subrev_f32_e64_dpp v5, v1, v2 row_shr:15
// GFX12: v_subrev_f32_e64_dpp v5, v1, v2 row_shr:15 row_mask:0xf bank_mask:0xf ; encoding: [0x05,0x00,0x05,0xd5,0xfa,0x04,0x02,0x00,0x01,0x1f,0x01,0xff]

v_subrev_f32_e64_dpp v5, v1, v2 row_ror:1
// GFX12: v_subrev_f32_e64_dpp v5, v1, v2 row_ror:1 row_mask:0xf bank_mask:0xf ; encoding: [0x05,0x00,0x05,0xd5,0xfa,0x04,0x02,0x00,0x01,0x21,0x01,0xff]

v_subrev_f32_e64_dpp v5, v1, v2 row_ror:15
// GFX12: v_subrev_f32_e64_dpp v5, v1, v2 row_ror:15 row_mask:0xf bank_mask:0xf ; encoding: [0x05,0x00,0x05,0xd5,0xfa,0x04,0x02,0x00,0x01,0x2f,0x01,0xff]

v_subrev_f32_e64_dpp v5, v1, v2 row_share:0 row_mask:0xf bank_mask:0xf
// GFX12: v_subrev_f32_e64_dpp v5, v1, v2 row_share:0 row_mask:0xf bank_mask:0xf ; encoding: [0x05,0x00,0x05,0xd5,0xfa,0x04,0x02,0x00,0x01,0x50,0x01,0xff]

v_subrev_f32_e64_dpp v5, |v1|, -v2 mul:2 row_share:15 row_mask:0x0 bank_mask:0x1
// GFX12: v_subrev_f32_e64_dpp v5, |v1|, -v2 mul:2 row_share:15 row_mask:0x0 bank_mask:0x1 ; encoding: [0x05,0x01,0x05,0xd5,0xfa,0x04,0x02,0x48,0x01,0x5f,0x01,0x01]

v_subrev_f32_e64_dpp v5, -v1, |v2| mul:4 row_xmask:0 row_mask:0x1 bank_mask:0x3 bound_ctrl:1 fi:0
// GFX12: v_subrev_f32_e64_dpp v5, -v1, |v2| mul:4 row_xmask:0 row_mask:0x1 bank_mask:0x3 bound_ctrl:1 ; encoding: [0x05,0x02,0x05,0xd5,0xfa,0x04,0x02,0x30,0x01,0x60,0x09,0x13]

v_subrev_f32_e64_dpp v255, -|v255|, -|v255| clamp div:2 row_xmask:15 row_mask:0x3 bank_mask:0x0 bound_ctrl:0 fi:1
// GFX12: v_subrev_f32_e64_dpp v255, -|v255|, -|v255| clamp div:2 row_xmask:15 row_mask:0x3 bank_mask:0x0 fi:1 ; encoding: [0xff,0x83,0x05,0xd5,0xfa,0xfe,0x03,0x78,0xff,0x6f,0x05,0x30]

v_subrev_nc_u32_e64_dpp v5, v1, v2 quad_perm:[3,2,1,0]
// GFX12: v_subrev_nc_u32_e64_dpp v5, v1, v2 quad_perm:[3,2,1,0] row_mask:0xf bank_mask:0xf ; encoding: [0x05,0x00,0x27,0xd5,0xfa,0x04,0x02,0x00,0x01,0x1b,0x00,0xff]

v_subrev_nc_u32_e64_dpp v5, v1, v2 quad_perm:[0,1,2,3]
// GFX12: v_subrev_nc_u32_e64_dpp v5, v1, v2 quad_perm:[0,1,2,3] row_mask:0xf bank_mask:0xf ; encoding: [0x05,0x00,0x27,0xd5,0xfa,0x04,0x02,0x00,0x01,0xe4,0x00,0xff]

v_subrev_nc_u32_e64_dpp v5, v1, v2 row_mirror
// GFX12: v_subrev_nc_u32_e64_dpp v5, v1, v2 row_mirror row_mask:0xf bank_mask:0xf ; encoding: [0x05,0x00,0x27,0xd5,0xfa,0x04,0x02,0x00,0x01,0x40,0x01,0xff]

v_subrev_nc_u32_e64_dpp v5, v1, v2 row_half_mirror
// GFX12: v_subrev_nc_u32_e64_dpp v5, v1, v2 row_half_mirror row_mask:0xf bank_mask:0xf ; encoding: [0x05,0x00,0x27,0xd5,0xfa,0x04,0x02,0x00,0x01,0x41,0x01,0xff]

v_subrev_nc_u32_e64_dpp v5, v1, v2 row_shl:1
// GFX12: v_subrev_nc_u32_e64_dpp v5, v1, v2 row_shl:1 row_mask:0xf bank_mask:0xf ; encoding: [0x05,0x00,0x27,0xd5,0xfa,0x04,0x02,0x00,0x01,0x01,0x01,0xff]

v_subrev_nc_u32_e64_dpp v5, v1, v2 row_shl:15
// GFX12: v_subrev_nc_u32_e64_dpp v5, v1, v2 row_shl:15 row_mask:0xf bank_mask:0xf ; encoding: [0x05,0x00,0x27,0xd5,0xfa,0x04,0x02,0x00,0x01,0x0f,0x01,0xff]

v_subrev_nc_u32_e64_dpp v5, v1, s2 row_shl:15
// GFX12: v_subrev_nc_u32_e64_dpp v5, v1, s2 row_shl:15 row_mask:0xf bank_mask:0xf ; encoding: [0x05,0x00,0x27,0xd5,0xfa,0x04,0x00,0x00,0x01,0x0f,0x01,0xff]

v_subrev_nc_u32_e64_dpp v5, v1, 10 row_shl:15
// GFX12: v_subrev_nc_u32_e64_dpp v5, v1, 10 row_shl:15 row_mask:0xf bank_mask:0xf ; encoding: [0x05,0x00,0x27,0xd5,0xfa,0x14,0x01,0x00,0x01,0x0f,0x01,0xff]

v_subrev_nc_u32_e64_dpp v5, v1, v2 row_shr:1
// GFX12: v_subrev_nc_u32_e64_dpp v5, v1, v2 row_shr:1 row_mask:0xf bank_mask:0xf ; encoding: [0x05,0x00,0x27,0xd5,0xfa,0x04,0x02,0x00,0x01,0x11,0x01,0xff]

v_subrev_nc_u32_e64_dpp v5, v1, v2 row_shr:15
// GFX12: v_subrev_nc_u32_e64_dpp v5, v1, v2 row_shr:15 row_mask:0xf bank_mask:0xf ; encoding: [0x05,0x00,0x27,0xd5,0xfa,0x04,0x02,0x00,0x01,0x1f,0x01,0xff]

v_subrev_nc_u32_e64_dpp v5, v1, v2 row_ror:1
// GFX12: v_subrev_nc_u32_e64_dpp v5, v1, v2 row_ror:1 row_mask:0xf bank_mask:0xf ; encoding: [0x05,0x00,0x27,0xd5,0xfa,0x04,0x02,0x00,0x01,0x21,0x01,0xff]

v_subrev_nc_u32_e64_dpp v5, v1, v2 row_ror:15
// GFX12: v_subrev_nc_u32_e64_dpp v5, v1, v2 row_ror:15 row_mask:0xf bank_mask:0xf ; encoding: [0x05,0x00,0x27,0xd5,0xfa,0x04,0x02,0x00,0x01,0x2f,0x01,0xff]

v_subrev_nc_u32_e64_dpp v5, v1, v2 row_share:0 row_mask:0xf bank_mask:0xf
// GFX12: v_subrev_nc_u32_e64_dpp v5, v1, v2 row_share:0 row_mask:0xf bank_mask:0xf ; encoding: [0x05,0x00,0x27,0xd5,0xfa,0x04,0x02,0x00,0x01,0x50,0x01,0xff]

v_subrev_nc_u32_e64_dpp v5, v1, v2 row_share:15 row_mask:0x0 bank_mask:0x1
// GFX12: v_subrev_nc_u32_e64_dpp v5, v1, v2 row_share:15 row_mask:0x0 bank_mask:0x1 ; encoding: [0x05,0x00,0x27,0xd5,0xfa,0x04,0x02,0x00,0x01,0x5f,0x01,0x01]

v_subrev_nc_u32_e64_dpp v5, v1, v2 row_xmask:0 row_mask:0x1 bank_mask:0x3 bound_ctrl:1 fi:0
// GFX12: v_subrev_nc_u32_e64_dpp v5, v1, v2 row_xmask:0 row_mask:0x1 bank_mask:0x3 bound_ctrl:1 ; encoding: [0x05,0x00,0x27,0xd5,0xfa,0x04,0x02,0x00,0x01,0x60,0x09,0x13]

v_subrev_nc_u32_e64_dpp v255, v255, v255 clamp row_xmask:15 row_mask:0x3 bank_mask:0x0 bound_ctrl:0 fi:1
// GFX12: v_subrev_nc_u32_e64_dpp v255, v255, v255 clamp row_xmask:15 row_mask:0x3 bank_mask:0x0 fi:1 ; encoding: [0xff,0x80,0x27,0xd5,0xfa,0xfe,0x03,0x00,0xff,0x6f,0x05,0x30]

v_xnor_b32_e64_dpp v5, v1, v2 quad_perm:[3,2,1,0]
// GFX12: v_xnor_b32_e64_dpp v5, v1, v2 quad_perm:[3,2,1,0] row_mask:0xf bank_mask:0xf ; encoding: [0x05,0x00,0x1e,0xd5,0xfa,0x04,0x02,0x00,0x01,0x1b,0x00,0xff]

v_xnor_b32_e64_dpp v5, v1, v2 quad_perm:[0,1,2,3]
// GFX12: v_xnor_b32_e64_dpp v5, v1, v2 quad_perm:[0,1,2,3] row_mask:0xf bank_mask:0xf ; encoding: [0x05,0x00,0x1e,0xd5,0xfa,0x04,0x02,0x00,0x01,0xe4,0x00,0xff]

v_xnor_b32_e64_dpp v5, v1, v2 row_mirror
// GFX12: v_xnor_b32_e64_dpp v5, v1, v2 row_mirror row_mask:0xf bank_mask:0xf ; encoding: [0x05,0x00,0x1e,0xd5,0xfa,0x04,0x02,0x00,0x01,0x40,0x01,0xff]

v_xnor_b32_e64_dpp v5, v1, v2 row_half_mirror
// GFX12: v_xnor_b32_e64_dpp v5, v1, v2 row_half_mirror row_mask:0xf bank_mask:0xf ; encoding: [0x05,0x00,0x1e,0xd5,0xfa,0x04,0x02,0x00,0x01,0x41,0x01,0xff]

v_xnor_b32_e64_dpp v5, v1, v2 row_shl:1
// GFX12: v_xnor_b32_e64_dpp v5, v1, v2 row_shl:1 row_mask:0xf bank_mask:0xf ; encoding: [0x05,0x00,0x1e,0xd5,0xfa,0x04,0x02,0x00,0x01,0x01,0x01,0xff]

v_xnor_b32_e64_dpp v5, v1, v2 row_shl:15
// GFX12: v_xnor_b32_e64_dpp v5, v1, v2 row_shl:15 row_mask:0xf bank_mask:0xf ; encoding: [0x05,0x00,0x1e,0xd5,0xfa,0x04,0x02,0x00,0x01,0x0f,0x01,0xff]
	;; [unrolled: 3-line block ×4, first 2 shown]

v_xnor_b32_e64_dpp v5, v1, v2 row_shr:1
// GFX12: v_xnor_b32_e64_dpp v5, v1, v2 row_shr:1 row_mask:0xf bank_mask:0xf ; encoding: [0x05,0x00,0x1e,0xd5,0xfa,0x04,0x02,0x00,0x01,0x11,0x01,0xff]

v_xnor_b32_e64_dpp v5, v1, v2 row_shr:15
// GFX12: v_xnor_b32_e64_dpp v5, v1, v2 row_shr:15 row_mask:0xf bank_mask:0xf ; encoding: [0x05,0x00,0x1e,0xd5,0xfa,0x04,0x02,0x00,0x01,0x1f,0x01,0xff]

v_xnor_b32_e64_dpp v5, v1, v2 row_ror:1
// GFX12: v_xnor_b32_e64_dpp v5, v1, v2 row_ror:1 row_mask:0xf bank_mask:0xf ; encoding: [0x05,0x00,0x1e,0xd5,0xfa,0x04,0x02,0x00,0x01,0x21,0x01,0xff]

v_xnor_b32_e64_dpp v5, v1, v2 row_ror:15
// GFX12: v_xnor_b32_e64_dpp v5, v1, v2 row_ror:15 row_mask:0xf bank_mask:0xf ; encoding: [0x05,0x00,0x1e,0xd5,0xfa,0x04,0x02,0x00,0x01,0x2f,0x01,0xff]

v_xnor_b32_e64_dpp v5, v1, v2 row_share:0 row_mask:0xf bank_mask:0xf
// GFX12: v_xnor_b32_e64_dpp v5, v1, v2 row_share:0 row_mask:0xf bank_mask:0xf ; encoding: [0x05,0x00,0x1e,0xd5,0xfa,0x04,0x02,0x00,0x01,0x50,0x01,0xff]

v_xnor_b32_e64_dpp v5, v1, v2 row_share:15 row_mask:0x0 bank_mask:0x1
// GFX12: v_xnor_b32_e64_dpp v5, v1, v2 row_share:15 row_mask:0x0 bank_mask:0x1 ; encoding: [0x05,0x00,0x1e,0xd5,0xfa,0x04,0x02,0x00,0x01,0x5f,0x01,0x01]

v_xnor_b32_e64_dpp v5, v1, v2 row_xmask:0 row_mask:0x1 bank_mask:0x3 bound_ctrl:1 fi:0
// GFX12: v_xnor_b32_e64_dpp v5, v1, v2 row_xmask:0 row_mask:0x1 bank_mask:0x3 bound_ctrl:1 ; encoding: [0x05,0x00,0x1e,0xd5,0xfa,0x04,0x02,0x00,0x01,0x60,0x09,0x13]

v_xnor_b32_e64_dpp v255, v255, v255 row_xmask:15 row_mask:0x3 bank_mask:0x0 bound_ctrl:0 fi:1
// GFX12: v_xnor_b32_e64_dpp v255, v255, v255 row_xmask:15 row_mask:0x3 bank_mask:0x0 fi:1 ; encoding: [0xff,0x00,0x1e,0xd5,0xfa,0xfe,0x03,0x00,0xff,0x6f,0x05,0x30]

v_xor_b32_e64_dpp v5, v1, v2 quad_perm:[3,2,1,0]
// GFX12: v_xor_b32_e64_dpp v5, v1, v2 quad_perm:[3,2,1,0] row_mask:0xf bank_mask:0xf ; encoding: [0x05,0x00,0x1d,0xd5,0xfa,0x04,0x02,0x00,0x01,0x1b,0x00,0xff]

v_xor_b32_e64_dpp v5, v1, v2 quad_perm:[0,1,2,3]
// GFX12: v_xor_b32_e64_dpp v5, v1, v2 quad_perm:[0,1,2,3] row_mask:0xf bank_mask:0xf ; encoding: [0x05,0x00,0x1d,0xd5,0xfa,0x04,0x02,0x00,0x01,0xe4,0x00,0xff]

v_xor_b32_e64_dpp v5, v1, v2 row_mirror
// GFX12: v_xor_b32_e64_dpp v5, v1, v2 row_mirror row_mask:0xf bank_mask:0xf ; encoding: [0x05,0x00,0x1d,0xd5,0xfa,0x04,0x02,0x00,0x01,0x40,0x01,0xff]

v_xor_b32_e64_dpp v5, v1, v2 row_half_mirror
// GFX12: v_xor_b32_e64_dpp v5, v1, v2 row_half_mirror row_mask:0xf bank_mask:0xf ; encoding: [0x05,0x00,0x1d,0xd5,0xfa,0x04,0x02,0x00,0x01,0x41,0x01,0xff]

v_xor_b32_e64_dpp v5, v1, v2 row_shl:1
// GFX12: v_xor_b32_e64_dpp v5, v1, v2 row_shl:1 row_mask:0xf bank_mask:0xf ; encoding: [0x05,0x00,0x1d,0xd5,0xfa,0x04,0x02,0x00,0x01,0x01,0x01,0xff]

v_xor_b32_e64_dpp v5, v1, v2 row_shl:15
// GFX12: v_xor_b32_e64_dpp v5, v1, v2 row_shl:15 row_mask:0xf bank_mask:0xf ; encoding: [0x05,0x00,0x1d,0xd5,0xfa,0x04,0x02,0x00,0x01,0x0f,0x01,0xff]

v_xor_b32_e64_dpp v5, v1, s2 row_shl:15
// GFX12: v_xor_b32_e64_dpp v5, v1, s2 row_shl:15 row_mask:0xf bank_mask:0xf ; encoding: [0x05,0x00,0x1d,0xd5,0xfa,0x04,0x00,0x00,0x01,0x0f,0x01,0xff]

v_xor_b32_e64_dpp v5, v1, 10 row_shl:15
// GFX12: v_xor_b32_e64_dpp v5, v1, 10 row_shl:15 row_mask:0xf bank_mask:0xf ; encoding: [0x05,0x00,0x1d,0xd5,0xfa,0x14,0x01,0x00,0x01,0x0f,0x01,0xff]

v_xor_b32_e64_dpp v5, v1, v2 row_shr:1
// GFX12: v_xor_b32_e64_dpp v5, v1, v2 row_shr:1 row_mask:0xf bank_mask:0xf ; encoding: [0x05,0x00,0x1d,0xd5,0xfa,0x04,0x02,0x00,0x01,0x11,0x01,0xff]

v_xor_b32_e64_dpp v5, v1, v2 row_shr:15
// GFX12: v_xor_b32_e64_dpp v5, v1, v2 row_shr:15 row_mask:0xf bank_mask:0xf ; encoding: [0x05,0x00,0x1d,0xd5,0xfa,0x04,0x02,0x00,0x01,0x1f,0x01,0xff]

v_xor_b32_e64_dpp v5, v1, v2 row_ror:1
// GFX12: v_xor_b32_e64_dpp v5, v1, v2 row_ror:1 row_mask:0xf bank_mask:0xf ; encoding: [0x05,0x00,0x1d,0xd5,0xfa,0x04,0x02,0x00,0x01,0x21,0x01,0xff]

v_xor_b32_e64_dpp v5, v1, v2 row_ror:15
// GFX12: v_xor_b32_e64_dpp v5, v1, v2 row_ror:15 row_mask:0xf bank_mask:0xf ; encoding: [0x05,0x00,0x1d,0xd5,0xfa,0x04,0x02,0x00,0x01,0x2f,0x01,0xff]

v_xor_b32_e64_dpp v5, v1, v2 row_share:0 row_mask:0xf bank_mask:0xf
// GFX12: v_xor_b32_e64_dpp v5, v1, v2 row_share:0 row_mask:0xf bank_mask:0xf ; encoding: [0x05,0x00,0x1d,0xd5,0xfa,0x04,0x02,0x00,0x01,0x50,0x01,0xff]

v_xor_b32_e64_dpp v5, v1, v2 row_share:15 row_mask:0x0 bank_mask:0x1
// GFX12: v_xor_b32_e64_dpp v5, v1, v2 row_share:15 row_mask:0x0 bank_mask:0x1 ; encoding: [0x05,0x00,0x1d,0xd5,0xfa,0x04,0x02,0x00,0x01,0x5f,0x01,0x01]

v_xor_b32_e64_dpp v5, v1, v2 row_xmask:0 row_mask:0x1 bank_mask:0x3 bound_ctrl:1 fi:0
// GFX12: v_xor_b32_e64_dpp v5, v1, v2 row_xmask:0 row_mask:0x1 bank_mask:0x3 bound_ctrl:1 ; encoding: [0x05,0x00,0x1d,0xd5,0xfa,0x04,0x02,0x00,0x01,0x60,0x09,0x13]

v_xor_b32_e64_dpp v255, v255, v255 row_xmask:15 row_mask:0x3 bank_mask:0x0 bound_ctrl:0 fi:1
// GFX12: v_xor_b32_e64_dpp v255, v255, v255 row_xmask:15 row_mask:0x3 bank_mask:0x0 fi:1 ; encoding: [0xff,0x00,0x1d,0xd5,0xfa,0xfe,0x03,0x00,0xff,0x6f,0x05,0x30]
